;; amdgpu-corpus repo=ROCm/rocFFT kind=compiled arch=gfx950 opt=O3
	.text
	.amdgcn_target "amdgcn-amd-amdhsa--gfx950"
	.amdhsa_code_object_version 6
	.protected	bluestein_single_back_len156_dim1_dp_op_CI_CI ; -- Begin function bluestein_single_back_len156_dim1_dp_op_CI_CI
	.globl	bluestein_single_back_len156_dim1_dp_op_CI_CI
	.p2align	8
	.type	bluestein_single_back_len156_dim1_dp_op_CI_CI,@function
bluestein_single_back_len156_dim1_dp_op_CI_CI: ; @bluestein_single_back_len156_dim1_dp_op_CI_CI
; %bb.0:
	s_load_dwordx4 s[16:19], s[0:1], 0x28
	v_mul_u32_u24_e32 v1, 0x13b2, v0
	v_lshrrev_b32_e32 v2, 16, v1
	v_mad_u64_u32 v[186:187], s[2:3], s2, 9, v[2:3]
	v_mov_b32_e32 v189, 0
	v_mov_b32_e32 v187, v189
	s_waitcnt lgkmcnt(0)
	v_cmp_gt_u64_e32 vcc, s[16:17], v[186:187]
	s_and_saveexec_b64 s[2:3], vcc
	s_cbranch_execz .LBB0_10
; %bb.1:
	s_load_dwordx4 s[4:7], s[0:1], 0x18
	s_load_dwordx4 s[8:11], s[0:1], 0x0
	v_mul_lo_u16_e32 v1, 13, v2
	v_sub_u16_e32 v184, v0, v1
	v_mov_b32_e32 v4, s18
	s_waitcnt lgkmcnt(0)
	s_load_dwordx4 s[12:15], s[4:5], 0x0
	v_mov_b32_e32 v5, s19
	v_mov_b32_e32 v30, 0x340
	v_lshlrev_b32_e32 v188, 4, v184
	global_load_dwordx4 v[72:75], v188, s[8:9]
	global_load_dwordx4 v[38:41], v188, s[8:9] offset:832
	s_waitcnt lgkmcnt(0)
	v_mad_u64_u32 v[0:1], s[2:3], s14, v186, 0
	v_mov_b32_e32 v2, v1
	v_mad_u64_u32 v[2:3], s[2:3], s15, v186, v[2:3]
	v_mov_b32_e32 v1, v2
	;; [unrolled: 2-line block ×4, first 2 shown]
	v_lshl_add_u64 v[0:1], v[0:1], 4, v[4:5]
	v_lshl_add_u64 v[0:1], v[2:3], 4, v[0:1]
	global_load_dwordx4 v[48:51], v[0:1], off
	v_mad_u64_u32 v[0:1], s[2:3], s12, v30, v[0:1]
	s_mul_i32 s2, s13, 0x340
	s_nop 0
	v_add_u32_e32 v1, s2, v1
	v_mad_u64_u32 v[2:3], s[4:5], s12, v30, v[0:1]
	global_load_dwordx4 v[56:59], v[0:1], off
	v_add_u32_e32 v3, s2, v3
	v_mov_b32_e32 v22, 0xfffffa50
	s_mul_i32 s3, s13, 0xfffffa50
	global_load_dwordx4 v[52:55], v[2:3], off
	global_load_dwordx4 v[42:45], v188, s[8:9] offset:1664
	v_mad_u64_u32 v[0:1], s[4:5], s12, v22, v[2:3]
	s_sub_i32 s3, s3, s12
	v_add_u32_e32 v1, s3, v1
	global_load_dwordx4 v[84:87], v188, s[8:9] offset:208
	global_load_dwordx4 v[60:63], v[0:1], off
	v_mad_u64_u32 v[4:5], s[4:5], s12, v30, v[0:1]
	v_add_u32_e32 v5, s2, v5
	global_load_dwordx4 v[0:3], v[4:5], off
	global_load_dwordx4 v[92:95], v188, s[8:9] offset:1040
	v_mad_u64_u32 v[8:9], s[4:5], s12, v30, v[4:5]
	v_add_u32_e32 v9, s2, v9
	global_load_dwordx4 v[4:7], v[8:9], off
	global_load_dwordx4 v[96:99], v188, s[8:9] offset:1872
	;; [unrolled: 4-line block ×7, first 2 shown]
	v_mad_u64_u32 v[32:33], s[4:5], s12, v30, v[28:29]
	v_add_u32_e32 v33, s2, v33
	global_load_dwordx4 v[88:91], v188, s[8:9] offset:2288
	global_load_dwordx4 v[28:31], v[32:33], off
	s_mov_b32 s3, 0x38e38e39
	v_mul_hi_u32 v32, v186, s3
	v_lshrrev_b32_e32 v32, 1, v32
	v_lshl_add_u32 v32, v32, 3, v32
	v_sub_u32_e32 v32, v186, v32
	v_mul_u32_u24_e32 v32, 0x9c, v32
	v_lshlrev_b32_e32 v226, 4, v32
	v_add_u32_e32 v187, v188, v226
	s_mov_b32 s2, 0
	s_load_dwordx4 s[4:7], s[6:7], 0x0
	v_mov_b32_e32 v185, s2
	s_mov_b32 s2, 0xe8584caa
	s_mov_b32 s3, 0x3febb67a
	;; [unrolled: 1-line block ×4, first 2 shown]
	s_waitcnt vmcnt(23)
	v_accvgpr_write_b32 a20, v72
	v_accvgpr_write_b32 a21, v73
	;; [unrolled: 1-line block ×4, first 2 shown]
	s_waitcnt vmcnt(22)
	v_accvgpr_write_b32 a8, v38
	v_accvgpr_write_b32 a9, v39
	;; [unrolled: 1-line block ×4, first 2 shown]
	s_load_dwordx2 s[0:1], s[0:1], 0x38
	v_cmp_gt_u16_e32 vcc, 12, v184
                                        ; implicit-def: $vgpr180_vgpr181
	s_waitcnt vmcnt(21)
	v_mul_f64 v[64:65], v[50:51], v[74:75]
	v_mul_f64 v[32:33], v[48:49], v[74:75]
	v_fmac_f64_e32 v[64:65], v[48:49], v[72:73]
	v_fma_f64 v[66:67], v[50:51], v[72:73], -v[32:33]
	ds_write_b128 v187, v[64:67]
	v_lshl_add_u64 v[72:73], v[184:185], 0, 26
	s_waitcnt vmcnt(20)
	v_mul_f64 v[48:49], v[58:59], v[40:41]
	v_mul_f64 v[32:33], v[56:57], v[40:41]
	v_fmac_f64_e32 v[48:49], v[56:57], v[38:39]
	v_fma_f64 v[50:51], v[58:59], v[38:39], -v[32:33]
	ds_write_b128 v187, v[48:51] offset:832
	s_waitcnt vmcnt(18)
	v_mul_f64 v[48:49], v[54:55], v[44:45]
	v_mul_f64 v[32:33], v[52:53], v[44:45]
	v_fmac_f64_e32 v[48:49], v[52:53], v[42:43]
	v_fma_f64 v[50:51], v[54:55], v[42:43], -v[32:33]
	ds_write_b128 v187, v[48:51] offset:1664
	;; [unrolled: 6-line block ×3, first 2 shown]
	s_waitcnt vmcnt(14)
	v_mul_f64 v[48:49], v[2:3], v[94:95]
	v_fmac_f64_e32 v[48:49], v[0:1], v[92:93]
	v_mul_f64 v[0:1], v[0:1], v[94:95]
	v_fma_f64 v[50:51], v[2:3], v[92:93], -v[0:1]
	s_waitcnt vmcnt(12)
	v_mul_f64 v[0:1], v[6:7], v[98:99]
	v_mul_f64 v[2:3], v[4:5], v[98:99]
	v_fmac_f64_e32 v[0:1], v[4:5], v[96:97]
	v_fma_f64 v[2:3], v[6:7], v[96:97], -v[2:3]
	ds_write_b128 v187, v[0:3] offset:1872
	s_waitcnt vmcnt(10)
	v_mul_f64 v[0:1], v[10:11], v[70:71]
	v_mul_f64 v[2:3], v[8:9], v[70:71]
	v_fmac_f64_e32 v[0:1], v[8:9], v[68:69]
	v_fma_f64 v[2:3], v[10:11], v[68:69], -v[2:3]
	ds_write_b128 v187, v[0:3] offset:416
	;; [unrolled: 6-line block ×7, first 2 shown]
	ds_write_b128 v187, v[0:3] offset:2288
	s_waitcnt lgkmcnt(0)
	s_barrier
	ds_read_b128 v[48:51], v187
	ds_read_b128 v[0:3], v187 offset:208
	ds_read_b128 v[4:7], v187 offset:832
	ds_read_b128 v[8:11], v187 offset:1040
	ds_read_b128 v[12:15], v187 offset:1664
	ds_read_b128 v[16:19], v187 offset:1872
	ds_read_b128 v[20:23], v187 offset:416
	ds_read_b128 v[24:27], v187 offset:624
	ds_read_b128 v[28:31], v187 offset:1248
	ds_read_b128 v[52:55], v187 offset:1456
	ds_read_b128 v[58:61], v187 offset:2080
	ds_read_b128 v[62:65], v187 offset:2288
	s_waitcnt lgkmcnt(9)
	v_add_f64 v[32:33], v[48:49], v[4:5]
	s_waitcnt lgkmcnt(7)
	v_add_f64 v[66:67], v[32:33], v[12:13]
	v_add_f64 v[32:33], v[4:5], v[12:13]
	v_fmac_f64_e32 v[48:49], -0.5, v[32:33]
	v_add_f64 v[32:33], v[6:7], -v[14:15]
	v_fma_f64 v[74:75], s[2:3], v[32:33], v[48:49]
	v_fmac_f64_e32 v[48:49], s[12:13], v[32:33]
	v_add_f64 v[32:33], v[50:51], v[6:7]
	v_add_f64 v[6:7], v[6:7], v[14:15]
	v_accvgpr_write_b32 a24, v76
	v_fmac_f64_e32 v[50:51], -0.5, v[6:7]
	v_add_f64 v[4:5], v[4:5], -v[12:13]
	s_waitcnt lgkmcnt(6)
	v_add_f64 v[6:7], v[8:9], v[16:17]
	v_accvgpr_write_b32 a25, v77
	v_accvgpr_write_b32 a26, v78
	;; [unrolled: 1-line block ×3, first 2 shown]
	v_fma_f64 v[76:77], s[12:13], v[4:5], v[50:51]
	v_fmac_f64_e32 v[50:51], s[2:3], v[4:5]
	v_add_f64 v[4:5], v[0:1], v[8:9]
	v_fmac_f64_e32 v[0:1], -0.5, v[6:7]
	v_add_f64 v[6:7], v[10:11], -v[18:19]
	v_fma_f64 v[12:13], s[2:3], v[6:7], v[0:1]
	v_fmac_f64_e32 v[0:1], s[12:13], v[6:7]
	v_add_f64 v[6:7], v[2:3], v[10:11]
	v_add_f64 v[10:11], v[10:11], v[18:19]
	v_accvgpr_write_b32 a16, v68
	v_fmac_f64_e32 v[2:3], -0.5, v[10:11]
	v_add_f64 v[8:9], v[8:9], -v[16:17]
	s_waitcnt lgkmcnt(1)
	v_add_f64 v[10:11], v[28:29], v[58:59]
	v_accvgpr_write_b32 a17, v69
	v_accvgpr_write_b32 a18, v70
	;; [unrolled: 1-line block ×3, first 2 shown]
	v_add_f64 v[68:69], v[32:33], v[14:15]
	v_add_f64 v[6:7], v[6:7], v[18:19]
	v_fma_f64 v[14:15], s[12:13], v[8:9], v[2:3]
	v_fmac_f64_e32 v[2:3], s[2:3], v[8:9]
	v_add_f64 v[8:9], v[20:21], v[28:29]
	v_fmac_f64_e32 v[20:21], -0.5, v[10:11]
	v_add_f64 v[10:11], v[30:31], -v[60:61]
	v_add_f64 v[18:19], v[30:31], v[60:61]
	v_add_f64 v[4:5], v[4:5], v[16:17]
	v_fma_f64 v[16:17], s[2:3], v[10:11], v[20:21]
	v_fmac_f64_e32 v[20:21], s[12:13], v[10:11]
	v_add_f64 v[10:11], v[22:23], v[30:31]
	v_fmac_f64_e32 v[22:23], -0.5, v[18:19]
	v_add_f64 v[28:29], v[28:29], -v[58:59]
	s_waitcnt lgkmcnt(0)
	v_add_f64 v[30:31], v[52:53], v[62:63]
	v_fma_f64 v[18:19], s[12:13], v[28:29], v[22:23]
	v_fmac_f64_e32 v[22:23], s[2:3], v[28:29]
	v_add_f64 v[28:29], v[24:25], v[52:53]
	v_fmac_f64_e32 v[24:25], -0.5, v[30:31]
	v_add_f64 v[30:31], v[54:55], -v[64:65]
	v_add_f64 v[32:33], v[54:55], v[64:65]
	v_add_f64 v[8:9], v[8:9], v[58:59]
	v_fma_f64 v[58:59], s[2:3], v[30:31], v[24:25]
	v_fmac_f64_e32 v[24:25], s[12:13], v[30:31]
	v_add_f64 v[30:31], v[26:27], v[54:55]
	v_fmac_f64_e32 v[26:27], -0.5, v[32:33]
	v_add_f64 v[32:33], v[52:53], -v[62:63]
	v_lshl_add_u64 v[56:57], v[184:185], 0, 13
	v_add_f64 v[10:11], v[10:11], v[60:61]
	v_fma_f64 v[60:61], s[12:13], v[32:33], v[26:27]
	v_fmac_f64_e32 v[26:27], s[2:3], v[32:33]
	v_mul_lo_u16_e32 v32, 3, v184
	v_lshl_add_u32 v227, v32, 4, v226
	v_mul_u32_u24_e32 v32, 3, v56
	v_accvgpr_write_b32 a4, v34
	v_lshl_add_u32 v230, v32, 4, v226
	v_accvgpr_write_b32 a5, v35
	v_accvgpr_write_b32 a6, v36
	v_accvgpr_write_b32 a7, v37
	v_add_u32_e32 v34, 39, v184
	s_barrier
	ds_write_b128 v227, v[66:69]
	ds_write_b128 v227, v[74:77] offset:16
	ds_write_b128 v227, v[48:51] offset:32
	ds_write_b128 v230, v[4:7]
	ds_write_b128 v230, v[12:15] offset:16
	ds_write_b128 v230, v[0:3] offset:32
	v_mul_u32_u24_e32 v0, 3, v72
	v_lshl_add_u32 v231, v0, 4, v226
	v_mul_u32_u24_e32 v0, 3, v34
	v_add_f64 v[28:29], v[28:29], v[62:63]
	v_add_f64 v[30:31], v[30:31], v[64:65]
	v_lshl_add_u32 v0, v0, 4, v226
	s_movk_i32 s2, 0xab
	v_accvgpr_write_b32 a12, v42
	ds_write_b128 v231, v[8:11]
	ds_write_b128 v231, v[16:19] offset:16
	ds_write_b128 v231, v[20:23] offset:32
	ds_write_b128 v0, v[28:31]
	ds_write_b128 v0, v[58:61] offset:16
	v_accvgpr_write_b32 a50, v0
	ds_write_b128 v0, v[24:27] offset:32
	v_mul_lo_u16_sdwa v0, v184, s2 dst_sel:DWORD dst_unused:UNUSED_PAD src0_sel:BYTE_0 src1_sel:DWORD
	v_accvgpr_write_b32 a13, v43
	v_accvgpr_write_b32 a14, v44
	;; [unrolled: 1-line block ×3, first 2 shown]
	v_lshrrev_b16_e32 v44, 9, v0
	v_mul_lo_u16_e32 v0, 3, v44
	v_sub_u16_e32 v45, v184, v0
	v_mul_lo_u16_e32 v0, 48, v45
	v_and_b32_e32 v0, 0xf0, v0
	v_mov_b32_e32 v1, v189
	v_mul_lo_u16_sdwa v2, v56, s2 dst_sel:DWORD dst_unused:UNUSED_PAD src0_sel:BYTE_0 src1_sel:DWORD
	v_lshl_add_u64 v[0:1], s[10:11], 0, v[0:1]
	v_lshrrev_b16_e32 v46, 9, v2
	s_waitcnt lgkmcnt(0)
	s_barrier
	global_load_dwordx4 v[52:55], v[0:1], off
	global_load_dwordx4 v[48:51], v[0:1], off offset:16
	v_mul_lo_u16_e32 v2, 3, v46
	v_sub_u16_e32 v47, v56, v2
	v_mul_lo_u16_e32 v2, 48, v47
	global_load_dwordx4 v[56:59], v[0:1], off offset:32
	v_and_b32_e32 v0, 0xf0, v2
	v_mov_b32_e32 v1, v189
	v_lshl_add_u64 v[0:1], s[10:11], 0, v[0:1]
	global_load_dwordx4 v[64:67], v[0:1], off
	global_load_dwordx4 v[60:63], v[0:1], off offset:16
	global_load_dwordx4 v[68:71], v[0:1], off offset:32
	v_accvgpr_write_b32 a28, v80
	v_mul_lo_u16_sdwa v0, v72, s2 dst_sel:DWORD dst_unused:UNUSED_PAD src0_sel:BYTE_0 src1_sel:DWORD
	v_accvgpr_write_b32 a29, v81
	v_accvgpr_write_b32 a30, v82
	;; [unrolled: 1-line block ×3, first 2 shown]
	v_lshrrev_b16_e32 v80, 9, v0
	v_mul_lo_u16_e32 v0, 3, v80
	v_sub_u16_e32 v0, v72, v0
	v_and_b32_e32 v81, 0xff, v0
	v_accvgpr_write_b32 a32, v84
	v_accvgpr_write_b32 a36, v88
	v_mad_u64_u32 v[0:1], s[2:3], v81, 48, s[10:11]
	v_accvgpr_write_b32 a33, v85
	v_accvgpr_write_b32 a34, v86
	v_accvgpr_write_b32 a35, v87
	v_accvgpr_write_b32 a37, v89
	v_accvgpr_write_b32 a38, v90
	v_accvgpr_write_b32 a39, v91
	global_load_dwordx4 v[76:79], v[0:1], off
	global_load_dwordx4 v[84:87], v[0:1], off offset:16
	global_load_dwordx4 v[88:91], v[0:1], off offset:32
	ds_read_b128 v[0:3], v187 offset:1248
	ds_read_b128 v[4:7], v187 offset:1456
	;; [unrolled: 1-line block ×8, first 2 shown]
	v_accvgpr_write_b32 a40, v92
	v_accvgpr_write_b32 a44, v96
	;; [unrolled: 1-line block ×8, first 2 shown]
	s_waitcnt vmcnt(8) lgkmcnt(5)
	v_mul_f64 v[32:33], v[10:11], v[54:55]
	v_fma_f64 v[32:33], v[8:9], v[52:53], -v[32:33]
	v_mul_f64 v[8:9], v[8:9], v[54:55]
	v_fmac_f64_e32 v[8:9], v[10:11], v[52:53]
	s_waitcnt vmcnt(7)
	v_mul_f64 v[10:11], v[2:3], v[50:51]
	v_fma_f64 v[10:11], v[0:1], v[48:49], -v[10:11]
	v_mul_f64 v[34:35], v[0:1], v[50:51]
	s_waitcnt vmcnt(6) lgkmcnt(1)
	v_mul_f64 v[0:1], v[26:27], v[58:59]
	v_fma_f64 v[36:37], v[24:25], v[56:57], -v[0:1]
	v_mul_f64 v[24:25], v[24:25], v[58:59]
	s_waitcnt vmcnt(5)
	v_mul_f64 v[0:1], v[18:19], v[66:67]
	v_fmac_f64_e32 v[34:35], v[2:3], v[48:49]
	v_fmac_f64_e32 v[24:25], v[26:27], v[56:57]
	v_fma_f64 v[26:27], v[16:17], v[64:65], -v[0:1]
	ds_read_b128 v[0:3], v187 offset:2080
	v_mul_f64 v[16:17], v[16:17], v[66:67]
	v_fmac_f64_e32 v[16:17], v[18:19], v[64:65]
	s_waitcnt vmcnt(4)
	v_mul_f64 v[18:19], v[6:7], v[62:63]
	v_mul_f64 v[38:39], v[4:5], v[62:63]
	v_fma_f64 v[18:19], v[4:5], v[60:61], -v[18:19]
	v_fmac_f64_e32 v[38:39], v[6:7], v[60:61]
	ds_read_b128 v[4:7], v187 offset:2288
	s_waitcnt vmcnt(3) lgkmcnt(1)
	v_mul_f64 v[40:41], v[2:3], v[70:71]
	v_fma_f64 v[40:41], v[0:1], v[68:69], -v[40:41]
	v_mul_f64 v[42:43], v[0:1], v[70:71]
	v_fmac_f64_e32 v[42:43], v[2:3], v[68:69]
	v_add_f64 v[36:37], v[32:33], -v[36:37]
	s_waitcnt vmcnt(2)
	v_mul_f64 v[0:1], v[22:23], v[78:79]
	v_fma_f64 v[72:73], v[20:21], v[76:77], -v[0:1]
	v_mul_f64 v[20:21], v[20:21], v[78:79]
	s_waitcnt vmcnt(1)
	v_mul_f64 v[0:1], v[30:31], v[86:87]
	v_fmac_f64_e32 v[20:21], v[22:23], v[76:77]
	v_fma_f64 v[22:23], v[28:29], v[84:85], -v[0:1]
	ds_read_b128 v[0:3], v187
	v_mul_f64 v[28:29], v[28:29], v[86:87]
	v_fmac_f64_e32 v[28:29], v[30:31], v[84:85]
	s_waitcnt vmcnt(0) lgkmcnt(1)
	v_mul_f64 v[30:31], v[6:7], v[90:91]
	v_mul_f64 v[74:75], v[4:5], v[90:91]
	v_fma_f64 v[30:31], v[4:5], v[88:89], -v[30:31]
	v_fmac_f64_e32 v[74:75], v[6:7], v[88:89]
	ds_read_b128 v[4:7], v187 offset:208
	s_waitcnt lgkmcnt(1)
	v_add_f64 v[10:11], v[0:1], -v[10:11]
	v_fma_f64 v[0:1], v[0:1], 2.0, -v[10:11]
	v_add_f64 v[24:25], v[8:9], -v[24:25]
	v_fma_f64 v[32:33], v[32:33], 2.0, -v[36:37]
	v_add_f64 v[34:35], v[2:3], -v[34:35]
	v_add_f64 v[132:133], v[0:1], -v[32:33]
	v_add_f64 v[144:145], v[10:11], -v[24:25]
	v_fma_f64 v[2:3], v[2:3], 2.0, -v[34:35]
	v_fma_f64 v[8:9], v[8:9], 2.0, -v[24:25]
	;; [unrolled: 1-line block ×4, first 2 shown]
	s_waitcnt lgkmcnt(0)
	v_add_f64 v[0:1], v[4:5], -v[18:19]
	v_add_f64 v[10:11], v[16:17], -v[42:43]
	v_add_f64 v[134:135], v[2:3], -v[8:9]
	v_add_f64 v[8:9], v[26:27], -v[40:41]
	v_add_f64 v[160:161], v[0:1], -v[10:11]
	v_fma_f64 v[4:5], v[4:5], 2.0, -v[0:1]
	v_fma_f64 v[18:19], v[26:27], 2.0, -v[8:9]
	;; [unrolled: 1-line block ×4, first 2 shown]
	v_add_f64 v[0:1], v[12:13], -v[22:23]
	v_add_f64 v[10:11], v[20:21], -v[74:75]
	v_fma_f64 v[138:139], v[2:3], 2.0, -v[134:135]
	v_add_f64 v[2:3], v[6:7], -v[38:39]
	v_add_f64 v[152:153], v[4:5], -v[18:19]
	;; [unrolled: 1-line block ×3, first 2 shown]
	v_fma_f64 v[148:149], v[4:5], 2.0, -v[152:153]
	v_add_f64 v[162:163], v[2:3], v[8:9]
	v_fma_f64 v[4:5], v[12:13], 2.0, -v[0:1]
	v_fma_f64 v[172:173], v[0:1], 2.0, -v[176:177]
	v_mul_lo_u16_e32 v0, 12, v44
	v_fma_f64 v[6:7], v[6:7], 2.0, -v[2:3]
	v_fma_f64 v[158:159], v[2:3], 2.0, -v[162:163]
	v_add_f64 v[2:3], v[14:15], -v[28:29]
	v_add_f64 v[8:9], v[72:73], -v[30:31]
	v_or_b32_e32 v0, v0, v45
	v_mul_lo_u16_e32 v1, 12, v46
	v_add_f64 v[154:155], v[6:7], -v[16:17]
	v_add_f64 v[178:179], v[2:3], v[8:9]
	v_or_b32_e32 v1, v1, v47
	v_and_b32_e32 v0, 0xff, v0
	v_fma_f64 v[150:151], v[6:7], 2.0, -v[154:155]
	v_fma_f64 v[6:7], v[14:15], 2.0, -v[2:3]
	;; [unrolled: 1-line block ×3, first 2 shown]
	v_mul_u32_u24_e32 v2, 12, v80
	v_lshl_add_u32 v185, v0, 4, v226
	v_and_b32_e32 v0, 0xff, v1
	v_add_f64 v[146:147], v[34:35], v[36:37]
	v_fma_f64 v[12:13], v[72:73], 2.0, -v[8:9]
	v_fma_f64 v[14:15], v[20:21], 2.0, -v[10:11]
	v_or_b32_e32 v2, v2, v81
	v_lshl_add_u32 v0, v0, 4, v226
	v_fma_f64 v[142:143], v[34:35], 2.0, -v[146:147]
	v_add_f64 v[168:169], v[4:5], -v[12:13]
	v_add_f64 v[170:171], v[6:7], -v[14:15]
	s_barrier
	ds_write_b128 v185, v[136:139]
	ds_write_b128 v185, v[140:143] offset:48
	ds_write_b128 v185, v[132:135] offset:96
	;; [unrolled: 1-line block ×3, first 2 shown]
	ds_write_b128 v0, v[148:151]
	ds_write_b128 v0, v[156:159] offset:48
	ds_write_b128 v0, v[152:155] offset:96
	v_accvgpr_write_b32 a52, v0
	ds_write_b128 v0, v[160:163] offset:144
	v_lshl_add_u32 v0, v2, 4, v226
	v_fma_f64 v[164:165], v[4:5], 2.0, -v[168:169]
	v_fma_f64 v[166:167], v[6:7], 2.0, -v[170:171]
	v_accvgpr_write_b32 a51, v0
	ds_write_b128 v0, v[164:167]
	ds_write_b128 v0, v[172:175] offset:48
	ds_write_b128 v0, v[168:171] offset:96
	;; [unrolled: 1-line block ×3, first 2 shown]
	s_waitcnt lgkmcnt(0)
	s_barrier
	s_and_saveexec_b64 s[2:3], vcc
	s_cbranch_execz .LBB0_3
; %bb.2:
	ds_read_b128 v[136:139], v187
	ds_read_b128 v[140:143], v187 offset:192
	ds_read_b128 v[132:135], v187 offset:384
	;; [unrolled: 1-line block ×12, first 2 shown]
.LBB0_3:
	s_or_b64 exec, exec, s[2:3]
	v_add_u32_e32 v0, -12, v184
	v_cndmask_b32_e32 v0, v0, v184, vcc
	v_mul_hi_i32_i24_e32 v1, 0xc0, v0
	v_mul_i32_i24_e32 v0, 0xc0, v0
	v_lshl_add_u64 v[0:1], s[10:11], 0, v[0:1]
	global_load_dwordx4 v[72:75], v[0:1], off offset:144
	global_load_dwordx4 v[80:83], v[0:1], off offset:160
	global_load_dwordx4 v[92:95], v[0:1], off offset:176
	global_load_dwordx4 v[96:99], v[0:1], off offset:192
	global_load_dwordx4 v[108:111], v[0:1], off offset:208
	global_load_dwordx4 v[124:127], v[0:1], off offset:224
	global_load_dwordx4 v[120:123], v[0:1], off offset:240
	global_load_dwordx4 v[112:115], v[0:1], off offset:256
	global_load_dwordx4 v[128:131], v[0:1], off offset:272
	global_load_dwordx4 v[116:119], v[0:1], off offset:288
	global_load_dwordx4 v[104:107], v[0:1], off offset:304
	global_load_dwordx4 v[100:103], v[0:1], off offset:320
	s_mov_b32 s16, 0x4267c47c
	s_mov_b32 s2, 0xe00740e9
	;; [unrolled: 1-line block ×24, first 2 shown]
	s_waitcnt vmcnt(11) lgkmcnt(11)
	v_mul_f64 v[190:191], v[140:141], v[74:75]
	v_mul_f64 v[0:1], v[142:143], v[74:75]
	s_waitcnt vmcnt(10) lgkmcnt(10)
	v_mul_f64 v[192:193], v[132:133], v[82:83]
	v_fmac_f64_e32 v[190:191], v[142:143], v[72:73]
	v_mul_f64 v[2:3], v[134:135], v[82:83]
	v_fma_f64 v[208:209], v[140:141], v[72:73], -v[0:1]
	v_fmac_f64_e32 v[192:193], v[134:135], v[80:81]
	s_waitcnt vmcnt(4) lgkmcnt(4)
	v_mul_f64 v[204:205], v[164:165], v[114:115]
	v_mul_f64 v[14:15], v[166:167], v[114:115]
	s_waitcnt vmcnt(2) lgkmcnt(2)
	v_mul_f64 v[210:211], v[168:169], v[118:119]
	s_waitcnt vmcnt(1) lgkmcnt(1)
	;; [unrolled: 2-line block ×3, first 2 shown]
	v_mul_f64 v[218:219], v[180:181], v[102:103]
	v_mul_f64 v[22:23], v[182:183], v[102:103]
	v_fmac_f64_e32 v[218:219], v[182:183], v[100:101]
	v_mul_f64 v[18:19], v[170:171], v[118:119]
	v_mul_f64 v[20:21], v[178:179], v[106:107]
	v_fmac_f64_e32 v[210:211], v[170:171], v[116:117]
	v_fmac_f64_e32 v[214:215], v[178:179], v[104:105]
	v_fma_f64 v[170:171], v[180:181], v[100:101], -v[22:23]
	v_add_f64 v[240:241], v[190:191], -v[218:219]
	v_fma_f64 v[212:213], v[132:133], v[80:81], -v[2:3]
	v_fmac_f64_e32 v[204:205], v[166:167], v[112:113]
	v_fma_f64 v[166:167], v[168:169], v[116:117], -v[18:19]
	v_fma_f64 v[168:169], v[176:177], v[104:105], -v[20:21]
	v_add_f64 v[180:181], v[208:209], v[170:171]
	v_add_f64 v[228:229], v[208:209], -v[170:171]
	v_add_f64 v[242:243], v[192:193], -v[214:215]
	v_mul_f64 v[36:37], v[240:241], s[16:17]
	v_mul_f64 v[4:5], v[146:147], v[94:95]
	v_add_f64 v[250:251], v[190:191], v[218:219]
	v_add_f64 v[182:183], v[212:213], v[168:169]
	v_add_f64 v[232:233], v[212:213], -v[168:169]
	v_mul_f64 v[40:41], v[228:229], s[16:17]
	v_mul_f64 v[38:39], v[242:243], s[12:13]
	v_fma_f64 v[0:1], s[2:3], v[180:181], v[36:37]
	v_mul_f64 v[194:195], v[144:145], v[94:95]
	v_fma_f64 v[216:217], v[144:145], v[92:93], -v[4:5]
	v_add_f64 v[254:255], v[192:193], v[214:215]
	v_mul_f64 v[42:43], v[232:233], s[12:13]
	v_fma_f64 v[2:3], v[250:251], s[2:3], -v[40:41]
	v_fma_f64 v[4:5], s[10:11], v[182:183], v[38:39]
	v_add_f64 v[0:1], v[136:137], v[0:1]
	v_fmac_f64_e32 v[194:195], v[146:147], v[92:93]
	v_add_f64 v[2:3], v[138:139], v[2:3]
	v_add_f64 v[4:5], v[4:5], v[0:1]
	v_fma_f64 v[0:1], v[254:255], s[10:11], -v[42:43]
	v_add_f64 v[2:3], v[0:1], v[2:3]
	v_add_f64 v[0:1], v[194:195], -v[210:211]
	v_mul_f64 v[6:7], v[150:151], v[98:99]
	v_mul_f64 v[196:197], v[148:149], v[98:99]
	;; [unrolled: 1-line block ×4, first 2 shown]
	v_add_f64 v[234:235], v[216:217], v[166:167]
	v_add_f64 v[244:245], v[216:217], -v[166:167]
	v_mul_f64 v[44:45], v[0:1], s[26:27]
	v_mul_f64 v[12:13], v[162:163], v[122:123]
	;; [unrolled: 1-line block ×4, first 2 shown]
	v_fma_f64 v[220:221], v[148:149], v[96:97], -v[6:7]
	v_fmac_f64_e32 v[196:197], v[150:151], v[96:97]
	v_fma_f64 v[224:225], v[152:153], v[124:125], -v[10:11]
	v_fmac_f64_e32 v[206:207], v[174:175], v[128:129]
	v_add_f64 v[10:11], v[194:195], v[210:211]
	v_mul_f64 v[46:47], v[244:245], s[26:27]
	v_fma_f64 v[6:7], s[18:19], v[234:235], v[44:45]
	v_fma_f64 v[160:161], v[160:161], v[120:121], -v[12:13]
	v_fmac_f64_e32 v[202:203], v[162:163], v[120:121]
	v_fma_f64 v[162:163], v[164:165], v[112:113], -v[14:15]
	v_fma_f64 v[164:165], v[172:173], v[128:129], -v[16:17]
	v_add_f64 v[4:5], v[6:7], v[4:5]
	v_fma_f64 v[6:7], v[10:11], s[18:19], -v[46:47]
	v_add_f64 v[12:13], v[196:197], -v[206:207]
	v_mul_f64 v[8:9], v[158:159], v[110:111]
	v_mul_f64 v[198:199], v[156:157], v[110:111]
	v_add_f64 v[6:7], v[6:7], v[2:3]
	v_add_f64 v[246:247], v[220:221], v[164:165]
	v_add_f64 v[2:3], v[220:221], -v[164:165]
	v_mul_f64 v[140:141], v[12:13], s[22:23]
	v_fma_f64 v[222:223], v[156:157], v[108:109], -v[8:9]
	v_fmac_f64_e32 v[198:199], v[158:159], v[108:109]
	v_add_f64 v[20:21], v[196:197], v[206:207]
	v_mul_f64 v[248:249], v[2:3], s[22:23]
	v_fma_f64 v[8:9], s[20:21], v[246:247], v[140:141]
	v_add_f64 v[8:9], v[8:9], v[4:5]
	v_fma_f64 v[4:5], v[20:21], s[20:21], -v[248:249]
	v_add_f64 v[22:23], v[198:199], -v[204:205]
	v_add_f64 v[14:15], v[4:5], v[6:7]
	v_add_f64 v[4:5], v[222:223], v[162:163]
	v_mul_f64 v[252:253], v[22:23], s[34:35]
	v_mul_f64 v[200:201], v[152:153], v[126:127]
	v_fma_f64 v[6:7], s[24:25], v[4:5], v[252:253]
	v_add_f64 v[18:19], v[222:223], -v[162:163]
	v_fmac_f64_e32 v[200:201], v[154:155], v[124:125]
	v_add_f64 v[16:17], v[6:7], v[8:9]
	v_add_f64 v[28:29], v[198:199], v[204:205]
	v_mul_f64 v[6:7], v[18:19], s[34:35]
	v_fma_f64 v[8:9], v[28:29], s[24:25], -v[6:7]
	v_add_f64 v[26:27], v[200:201], -v[202:203]
	v_add_f64 v[32:33], v[8:9], v[14:15]
	v_add_f64 v[14:15], v[224:225], v[160:161]
	v_mul_f64 v[8:9], v[26:27], s[30:31]
	v_fma_f64 v[24:25], s[28:29], v[14:15], v[8:9]
	v_add_f64 v[132:133], v[24:25], v[16:17]
	v_add_f64 v[24:25], v[224:225], -v[160:161]
	v_add_f64 v[30:31], v[200:201], v[202:203]
	v_mul_f64 v[16:17], v[24:25], s[30:31]
	v_fma_f64 v[34:35], v[30:31], s[28:29], -v[16:17]
	v_add_f64 v[134:135], v[34:35], v[32:33]
	v_lshl_add_u64 v[172:173], s[8:9], 0, v[188:189]
	s_and_saveexec_b64 s[14:15], vcc
	s_cbranch_execz .LBB0_5
; %bb.4:
	v_mul_f64 v[32:33], v[180:181], s[2:3]
	v_accvgpr_write_b32 a59, v33
	v_accvgpr_write_b32 a58, v32
	v_mul_f64 v[32:33], v[250:251], s[2:3]
	v_accvgpr_write_b32 a71, v33
	v_accvgpr_write_b32 a70, v32
	;; [unrolled: 3-line block ×9, first 2 shown]
	v_mul_f64 v[32:33], v[28:29], s[24:25]
	v_accvgpr_write_b32 a87, v33
	v_mul_f64 v[148:149], v[250:251], s[28:29]
	s_mov_b32 s45, 0x3fcea1e5
	s_mov_b32 s44, s30
	v_accvgpr_write_b32 a86, v32
	v_mul_f64 v[32:33], v[14:15], s[28:29]
	v_mul_f64 v[146:147], v[254:255], s[2:3]
	v_fma_f64 v[150:151], s[44:45], v[228:229], v[148:149]
	v_accvgpr_write_b32 a103, v47
	v_accvgpr_write_b32 a73, v33
	;; [unrolled: 1-line block ×3, first 2 shown]
	v_mul_f64 v[144:145], v[10:11], s[24:25]
	s_mov_b32 s37, 0x3fe5384d
	s_mov_b32 s36, s34
	v_accvgpr_write_b32 a88, v140
	v_fma_f64 v[142:143], s[16:17], v[232:233], v[146:147]
	v_add_f64 v[150:151], v[138:139], v[150:151]
	s_mov_b32 s43, 0x3fddbe06
	s_mov_b32 s42, s16
	v_accvgpr_write_b32 a102, v46
	v_mul_f64 v[46:47], v[240:241], s[30:31]
	v_accvgpr_write_b32 a72, v32
	v_mul_f64 v[32:33], v[30:31], s[28:29]
	v_accvgpr_write_b32 a69, v37
	v_accvgpr_write_b32 a92, v40
	v_mul_f64 v[40:41], v[20:21], s[10:11]
	v_accvgpr_write_b32 a95, v43
	v_accvgpr_write_b32 a89, v141
	v_fma_f64 v[140:141], s[36:37], v[244:245], v[144:145]
	v_add_f64 v[142:143], v[142:143], v[150:151]
	v_mul_f64 v[158:159], v[242:243], s[42:43]
	v_accvgpr_write_b32 a101, v45
	v_fma_f64 v[188:189], s[28:29], v[180:181], v[46:47]
	v_accvgpr_write_b32 a91, v33
	v_accvgpr_write_b32 a68, v36
	v_mul_f64 v[36:37], v[28:29], s[20:21]
	s_mov_b32 s41, 0x3fedeba7
	s_mov_b32 s40, s22
	v_accvgpr_write_b32 a81, v39
	v_accvgpr_write_b32 a94, v42
	v_fma_f64 v[42:43], s[12:13], v[2:3], v[40:41]
	v_add_f64 v[140:141], v[140:141], v[142:143]
	s_mov_b32 s47, 0x3fea55e2
	s_mov_b32 s46, s12
	v_mul_f64 v[154:155], v[0:1], s[34:35]
	v_accvgpr_write_b32 a100, v44
	v_fma_f64 v[44:45], s[2:3], v[182:183], v[158:159]
	v_add_f64 v[188:189], v[136:137], v[188:189]
	v_accvgpr_write_b32 a90, v32
	v_mul_f64 v[32:33], v[30:31], s[18:19]
	v_accvgpr_write_b32 a80, v38
	v_fma_f64 v[38:39], s[40:41], v[18:19], v[36:37]
	v_add_f64 v[42:43], v[42:43], v[140:141]
	v_mul_f64 v[150:151], v[12:13], s[46:47]
	v_fma_f64 v[156:157], s[24:25], v[234:235], v[154:155]
	v_add_f64 v[44:45], v[44:45], v[188:189]
	v_fma_f64 v[34:35], s[26:27], v[24:25], v[32:33]
	v_add_f64 v[38:39], v[38:39], v[42:43]
	s_mov_b32 s39, 0x3fefc445
	s_mov_b32 s38, s26
	v_mul_f64 v[42:43], v[22:23], s[22:23]
	v_fma_f64 v[152:153], s[10:11], v[246:247], v[150:151]
	v_add_f64 v[44:45], v[156:157], v[44:45]
	v_add_f64 v[142:143], v[34:35], v[38:39]
	v_mul_f64 v[34:35], v[26:27], s[38:39]
	v_fma_f64 v[140:141], s[20:21], v[4:5], v[42:43]
	v_add_f64 v[44:45], v[152:153], v[44:45]
	v_fma_f64 v[38:39], s[18:19], v[14:15], v[34:35]
	v_add_f64 v[44:45], v[140:141], v[44:45]
	v_fmac_f64_e32 v[148:149], s[30:31], v[228:229]
	v_add_f64 v[140:141], v[38:39], v[44:45]
	v_fmac_f64_e32 v[146:147], s[42:43], v[232:233]
	;; [unrolled: 2-line block ×6, first 2 shown]
	v_add_f64 v[36:37], v[36:37], v[38:39]
	v_add_f64 v[44:45], v[32:33], v[36:37]
	v_fma_f64 v[32:33], v[14:15], s[18:19], -v[34:35]
	v_fma_f64 v[34:35], v[4:5], s[20:21], -v[42:43]
	;; [unrolled: 1-line block ×4, first 2 shown]
	v_add_f64 v[42:43], v[136:137], v[42:43]
	v_fma_f64 v[38:39], v[234:235], s[24:25], -v[154:155]
	v_add_f64 v[40:41], v[40:41], v[42:43]
	v_fma_f64 v[36:37], v[246:247], s[10:11], -v[150:151]
	v_add_f64 v[38:39], v[38:39], v[40:41]
	v_add_f64 v[36:37], v[36:37], v[38:39]
	;; [unrolled: 1-line block ×3, first 2 shown]
	v_mul_f64 v[154:155], v[250:251], s[24:25]
	v_add_f64 v[42:43], v[32:33], v[34:35]
	v_accvgpr_write_b32 a77, v45
	v_mul_f64 v[152:153], v[254:255], s[18:19]
	v_fma_f64 v[150:151], s[36:37], v[228:229], v[154:155]
	v_accvgpr_write_b32 a54, v140
	v_accvgpr_write_b32 a76, v44
	;; [unrolled: 1-line block ×4, first 2 shown]
	v_mul_f64 v[44:45], v[10:11], s[10:11]
	v_fma_f64 v[148:149], s[26:27], v[232:233], v[152:153]
	v_add_f64 v[150:151], v[138:139], v[150:151]
	v_mul_f64 v[178:179], v[240:241], s[34:35]
	v_accvgpr_write_b32 a55, v141
	v_accvgpr_write_b32 a56, v142
	;; [unrolled: 1-line block ×3, first 2 shown]
	v_mul_f64 v[40:41], v[20:21], s[28:29]
	v_fma_f64 v[46:47], s[46:47], v[244:245], v[44:45]
	v_add_f64 v[148:149], v[148:149], v[150:151]
	v_mul_f64 v[174:175], v[242:243], s[38:39]
	v_fma_f64 v[140:141], s[24:25], v[180:181], v[178:179]
	v_mul_f64 v[36:37], v[28:29], s[2:3]
	v_fma_f64 v[42:43], s[30:31], v[2:3], v[40:41]
	v_add_f64 v[46:47], v[46:47], v[148:149]
	v_mul_f64 v[158:159], v[0:1], s[12:13]
	v_fma_f64 v[176:177], s[18:19], v[182:183], v[174:175]
	v_add_f64 v[140:141], v[136:137], v[140:141]
	;; [unrolled: 3-line block ×4, first 2 shown]
	v_fma_f64 v[34:35], s[40:41], v[24:25], v[32:33]
	v_add_f64 v[38:39], v[38:39], v[42:43]
	v_mul_f64 v[42:43], v[22:23], s[42:43]
	v_fma_f64 v[148:149], s[28:29], v[246:247], v[156:157]
	v_add_f64 v[140:141], v[188:189], v[140:141]
	v_add_f64 v[142:143], v[34:35], v[38:39]
	v_mul_f64 v[34:35], v[26:27], s[22:23]
	v_fma_f64 v[46:47], s[2:3], v[4:5], v[42:43]
	v_add_f64 v[140:141], v[148:149], v[140:141]
	v_fma_f64 v[38:39], s[20:21], v[14:15], v[34:35]
	v_add_f64 v[46:47], v[46:47], v[140:141]
	v_fmac_f64_e32 v[154:155], s[34:35], v[228:229]
	v_add_f64 v[140:141], v[38:39], v[46:47]
	v_fmac_f64_e32 v[152:153], s[38:39], v[232:233]
	;; [unrolled: 2-line block ×6, first 2 shown]
	v_add_f64 v[36:37], v[36:37], v[38:39]
	v_add_f64 v[154:155], v[32:33], v[36:37]
	v_fma_f64 v[32:33], v[14:15], s[20:21], -v[34:35]
	v_fma_f64 v[34:35], v[4:5], s[2:3], -v[42:43]
	;; [unrolled: 1-line block ×3, first 2 shown]
	v_accvgpr_write_b32 a96, v140
	v_fma_f64 v[40:41], v[182:183], s[18:19], -v[174:175]
	v_add_f64 v[42:43], v[136:137], v[42:43]
	v_mul_f64 v[174:175], v[250:251], s[20:21]
	v_accvgpr_write_b32 a97, v141
	v_accvgpr_write_b32 a98, v142
	;; [unrolled: 1-line block ×3, first 2 shown]
	v_fma_f64 v[36:37], v[246:247], s[28:29], -v[156:157]
	v_fma_f64 v[38:39], v[234:235], s[10:11], -v[158:159]
	v_add_f64 v[40:41], v[40:41], v[42:43]
	v_mul_f64 v[140:141], v[254:255], s[24:25]
	v_fma_f64 v[156:157], s[40:41], v[228:229], v[174:175]
	v_add_f64 v[38:39], v[38:39], v[40:41]
	v_mul_f64 v[44:45], v[10:11], s[2:3]
	v_fma_f64 v[142:143], s[34:35], v[232:233], v[140:141]
	v_add_f64 v[156:157], v[138:139], v[156:157]
	v_accvgpr_write_b32 a48, v230
	v_accvgpr_write_b32 a49, v231
	v_mul_f64 v[230:231], v[240:241], s[22:23]
	v_add_f64 v[36:37], v[36:37], v[38:39]
	v_mul_f64 v[40:41], v[20:21], s[18:19]
	v_fma_f64 v[46:47], s[16:17], v[244:245], v[44:45]
	v_add_f64 v[142:143], v[142:143], v[156:157]
	v_mul_f64 v[188:189], v[242:243], s[36:37]
	v_fma_f64 v[144:145], s[20:21], v[180:181], v[230:231]
	;; [unrolled: 3-line block ×3, first 2 shown]
	v_add_f64 v[46:47], v[46:47], v[142:143]
	v_mul_f64 v[176:177], v[0:1], s[42:43]
	v_mov_b32_e32 v150, v226
	v_mov_b32_e32 v151, v227
	v_fma_f64 v[226:227], s[24:25], v[182:183], v[188:189]
	v_add_f64 v[144:145], v[136:137], v[144:145]
	v_add_f64 v[152:153], v[32:33], v[34:35]
	v_mul_f64 v[32:33], v[30:31], s[10:11]
	v_fma_f64 v[38:39], s[30:31], v[18:19], v[36:37]
	v_add_f64 v[42:43], v[42:43], v[46:47]
	v_mul_f64 v[142:143], v[12:13], s[26:27]
	v_fma_f64 v[178:179], s[2:3], v[234:235], v[176:177]
	v_add_f64 v[144:145], v[226:227], v[144:145]
	v_fma_f64 v[34:35], s[12:13], v[24:25], v[32:33]
	v_add_f64 v[38:39], v[38:39], v[42:43]
	v_mul_f64 v[42:43], v[22:23], s[44:45]
	v_fma_f64 v[156:157], s[18:19], v[246:247], v[142:143]
	v_add_f64 v[144:145], v[178:179], v[144:145]
	v_add_f64 v[158:159], v[34:35], v[38:39]
	v_mul_f64 v[38:39], v[26:27], s[46:47]
	v_fma_f64 v[46:47], s[28:29], v[4:5], v[42:43]
	v_add_f64 v[144:145], v[156:157], v[144:145]
	v_fma_f64 v[34:35], s[10:11], v[14:15], v[38:39]
	v_add_f64 v[46:47], v[46:47], v[144:145]
	v_fmac_f64_e32 v[174:175], s[22:23], v[228:229]
	v_add_f64 v[156:157], v[34:35], v[46:47]
	v_fmac_f64_e32 v[140:141], s[36:37], v[232:233]
	;; [unrolled: 2-line block ×5, first 2 shown]
	v_add_f64 v[34:35], v[40:41], v[34:35]
	v_fma_f64 v[44:45], v[180:181], s[20:21], -v[230:231]
	v_mul_f64 v[174:175], v[250:251], s[18:19]
	v_accvgpr_write_b32 a0, v236
	v_add_f64 v[34:35], v[36:37], v[34:35]
	v_fma_f64 v[36:37], v[4:5], s[28:29], -v[42:43]
	v_fma_f64 v[40:41], v[234:235], s[2:3], -v[176:177]
	;; [unrolled: 1-line block ×3, first 2 shown]
	v_add_f64 v[44:45], v[136:137], v[44:45]
	v_mul_f64 v[144:145], v[254:255], s[28:29]
	v_fma_f64 v[176:177], s[38:39], v[228:229], v[174:175]
	v_accvgpr_write_b32 a1, v237
	v_accvgpr_write_b32 a2, v238
	v_accvgpr_write_b32 a3, v239
	v_mul_f64 v[238:239], v[240:241], s[26:27]
	v_fmac_f64_e32 v[32:33], s[46:47], v[24:25]
	v_add_f64 v[42:43], v[42:43], v[44:45]
	v_mul_f64 v[140:141], v[10:11], s[20:21]
	v_fma_f64 v[146:147], s[44:45], v[232:233], v[144:145]
	v_add_f64 v[176:177], v[138:139], v[176:177]
	v_mul_f64 v[230:231], v[242:243], s[30:31]
	v_fma_f64 v[148:149], s[18:19], v[180:181], v[238:239]
	v_add_f64 v[34:35], v[32:33], v[34:35]
	v_fma_f64 v[32:33], v[14:15], s[10:11], -v[38:39]
	v_fma_f64 v[38:39], v[246:247], s[18:19], -v[142:143]
	v_add_f64 v[40:41], v[40:41], v[42:43]
	v_mul_f64 v[44:45], v[20:21], s[2:3]
	v_fma_f64 v[142:143], s[22:23], v[244:245], v[140:141]
	v_add_f64 v[146:147], v[146:147], v[176:177]
	v_mul_f64 v[188:189], v[0:1], s[40:41]
	v_fma_f64 v[236:237], s[28:29], v[182:183], v[230:231]
	v_add_f64 v[148:149], v[136:137], v[148:149]
	v_add_f64 v[38:39], v[38:39], v[40:41]
	v_mul_f64 v[42:43], v[28:29], s[10:11]
	v_fma_f64 v[46:47], s[16:17], v[2:3], v[44:45]
	v_add_f64 v[142:143], v[142:143], v[146:147]
	v_mul_f64 v[176:177], v[12:13], s[42:43]
	v_fma_f64 v[226:227], s[20:21], v[234:235], v[188:189]
	v_add_f64 v[148:149], v[236:237], v[148:149]
	v_add_f64 v[36:37], v[36:37], v[38:39]
	v_mul_f64 v[40:41], v[30:31], s[24:25]
	v_fma_f64 v[38:39], s[46:47], v[18:19], v[42:43]
	v_add_f64 v[46:47], v[46:47], v[142:143]
	v_mul_f64 v[142:143], v[22:23], s[12:13]
	v_fma_f64 v[178:179], s[2:3], v[246:247], v[176:177]
	v_add_f64 v[148:149], v[226:227], v[148:149]
	v_add_f64 v[32:33], v[32:33], v[36:37]
	v_fma_f64 v[36:37], s[36:37], v[24:25], v[40:41]
	v_add_f64 v[38:39], v[38:39], v[46:47]
	v_mul_f64 v[46:47], v[26:27], s[34:35]
	v_fma_f64 v[146:147], s[10:11], v[4:5], v[142:143]
	v_add_f64 v[148:149], v[178:179], v[148:149]
	v_add_f64 v[38:39], v[36:37], v[38:39]
	v_fma_f64 v[36:37], s[24:25], v[14:15], v[46:47]
	v_add_f64 v[146:147], v[146:147], v[148:149]
	v_fmac_f64_e32 v[174:175], s[26:27], v[228:229]
	v_add_f64 v[36:37], v[36:37], v[146:147]
	v_fmac_f64_e32 v[144:145], s[30:31], v[232:233]
	;; [unrolled: 2-line block ×5, first 2 shown]
	v_add_f64 v[44:45], v[44:45], v[140:141]
	v_fma_f64 v[144:145], v[180:181], s[18:19], -v[238:239]
	v_add_f64 v[42:43], v[42:43], v[44:45]
	v_fma_f64 v[44:45], v[4:5], s[10:11], -v[142:143]
	v_fma_f64 v[142:143], v[182:183], s[28:29], -v[230:231]
	v_add_f64 v[144:145], v[136:137], v[144:145]
	v_mul_f64 v[148:149], v[250:251], s[10:11]
	v_mov_b32_e32 v227, v151
	v_mov_b32_e32 v226, v150
	v_fmac_f64_e32 v[40:41], s[34:35], v[24:25]
	v_fma_f64 v[140:141], v[234:235], s[20:21], -v[188:189]
	v_add_f64 v[142:143], v[142:143], v[144:145]
	v_mul_f64 v[144:145], v[254:255], s[20:21]
	v_fma_f64 v[150:151], s[46:47], v[228:229], v[148:149]
	v_add_f64 v[42:43], v[40:41], v[42:43]
	v_fma_f64 v[40:41], v[14:15], s[24:25], -v[46:47]
	v_fma_f64 v[46:47], v[246:247], s[2:3], -v[176:177]
	v_add_f64 v[140:141], v[140:141], v[142:143]
	v_mul_f64 v[10:11], v[10:11], s[28:29]
	v_fma_f64 v[146:147], s[40:41], v[232:233], v[144:145]
	v_add_f64 v[150:151], v[138:139], v[150:151]
	v_add_f64 v[46:47], v[46:47], v[140:141]
	v_mul_f64 v[20:21], v[20:21], s[24:25]
	v_fma_f64 v[142:143], s[44:45], v[244:245], v[10:11]
	v_add_f64 v[146:147], v[146:147], v[150:151]
	;; [unrolled: 4-line block ×3, first 2 shown]
	v_mul_f64 v[30:31], v[30:31], s[2:3]
	v_fma_f64 v[28:29], s[26:27], v[18:19], v[46:47]
	v_add_f64 v[140:141], v[140:141], v[142:143]
	v_fmac_f64_e32 v[148:149], s[12:13], v[228:229]
	v_add_f64 v[40:41], v[40:41], v[44:45]
	v_fma_f64 v[44:45], s[16:17], v[24:25], v[30:31]
	v_add_f64 v[28:29], v[28:29], v[140:141]
	v_mul_f64 v[176:177], v[240:241], s[12:13]
	v_fmac_f64_e32 v[20:21], s[36:37], v[2:3]
	v_fmac_f64_e32 v[144:145], s[22:23], v[232:233]
	v_add_f64 v[2:3], v[138:139], v[148:149]
	v_add_f64 v[28:29], v[44:45], v[28:29]
	v_mul_f64 v[44:45], v[26:27], s[42:43]
	v_mul_f64 v[150:151], v[242:243], s[22:23]
	v_fmac_f64_e32 v[46:47], s[38:39], v[18:19]
	v_fmac_f64_e32 v[10:11], s[30:31], v[244:245]
	v_add_f64 v[2:3], v[144:145], v[2:3]
	v_fma_f64 v[18:19], v[180:181], s[10:11], -v[176:177]
	v_fma_f64 v[26:27], s[2:3], v[14:15], v[44:45]
	v_mul_f64 v[0:1], v[0:1], s[30:31]
	v_add_f64 v[2:3], v[10:11], v[2:3]
	v_fma_f64 v[10:11], v[14:15], s[2:3], -v[44:45]
	v_fma_f64 v[14:15], v[182:183], s[20:21], -v[150:151]
	v_add_f64 v[18:19], v[136:137], v[18:19]
	v_mul_f64 v[12:13], v[12:13], s[36:37]
	v_fma_f64 v[146:147], s[28:29], v[234:235], v[0:1]
	v_fma_f64 v[0:1], v[234:235], s[28:29], -v[0:1]
	v_add_f64 v[14:15], v[14:15], v[18:19]
	v_mul_f64 v[22:23], v[22:23], s[38:39]
	v_fma_f64 v[142:143], s[24:25], v[246:247], v[12:13]
	v_fma_f64 v[12:13], v[246:247], s[24:25], -v[12:13]
	v_add_f64 v[0:1], v[0:1], v[14:15]
	v_fma_f64 v[140:141], s[18:19], v[4:5], v[22:23]
	v_fma_f64 v[4:5], v[4:5], s[18:19], -v[22:23]
	v_add_f64 v[0:1], v[12:13], v[0:1]
	v_add_f64 v[0:1], v[4:5], v[0:1]
	v_accvgpr_read_b32 v4, a90
	v_accvgpr_read_b32 v12, a82
	;; [unrolled: 1-line block ×6, first 2 shown]
	v_add_f64 v[4:5], v[16:17], v[4:5]
	v_add_f64 v[12:13], v[14:15], v[12:13]
	v_accvgpr_read_b32 v14, a78
	v_accvgpr_read_b32 v16, a94
	;; [unrolled: 1-line block ×4, first 2 shown]
	v_add_f64 v[14:15], v[16:17], v[14:15]
	v_accvgpr_read_b32 v16, a70
	v_accvgpr_read_b32 v18, a92
	v_add_f64 v[0:1], v[10:11], v[0:1]
	v_accvgpr_read_b32 v10, a86
	v_accvgpr_read_b32 v17, a71
	;; [unrolled: 1-line block ×4, first 2 shown]
	v_add_f64 v[16:17], v[18:19], v[16:17]
	v_add_f64 v[6:7], v[6:7], v[10:11]
	v_accvgpr_read_b32 v10, a84
	v_add_f64 v[16:17], v[138:139], v[16:17]
	v_accvgpr_read_b32 v11, a85
	v_add_f64 v[14:15], v[14:15], v[16:17]
	v_add_f64 v[10:11], v[248:249], v[10:11]
	;; [unrolled: 1-line block ×5, first 2 shown]
	v_accvgpr_read_b32 v10, a64
	v_accvgpr_read_b32 v12, a88
	v_accvgpr_read_b32 v11, a65
	v_accvgpr_read_b32 v13, a89
	v_add_f64 v[10:11], v[10:11], -v[12:13]
	v_accvgpr_read_b32 v12, a62
	v_accvgpr_read_b32 v14, a100
	v_accvgpr_read_b32 v13, a63
	v_accvgpr_read_b32 v15, a101
	v_add_f64 v[12:13], v[12:13], -v[14:15]
	;; [unrolled: 5-line block ×3, first 2 shown]
	v_accvgpr_read_b32 v16, a58
	v_accvgpr_read_b32 v18, a68
	;; [unrolled: 1-line block ×4, first 2 shown]
	v_add_f64 v[6:7], v[4:5], v[6:7]
	v_accvgpr_read_b32 v4, a72
	v_add_f64 v[16:17], v[16:17], -v[18:19]
	v_accvgpr_read_b32 v5, a73
	v_add_f64 v[16:17], v[136:137], v[16:17]
	v_add_f64 v[4:5], v[4:5], -v[8:9]
	v_accvgpr_read_b32 v8, a66
	v_add_f64 v[14:15], v[14:15], v[16:17]
	v_accvgpr_read_b32 v9, a67
	v_add_f64 v[12:13], v[12:13], v[14:15]
	v_add_f64 v[8:9], v[8:9], -v[252:253]
	v_add_f64 v[10:11], v[10:11], v[12:13]
	v_add_f64 v[8:9], v[8:9], v[10:11]
	v_add_f64 v[4:5], v[4:5], v[8:9]
	v_add_f64 v[8:9], v[138:139], v[190:191]
	v_add_f64 v[8:9], v[8:9], v[192:193]
	v_add_f64 v[8:9], v[8:9], v[194:195]
	v_add_f64 v[8:9], v[8:9], v[196:197]
	v_add_f64 v[8:9], v[8:9], v[198:199]
	v_add_f64 v[8:9], v[8:9], v[200:201]
	v_add_f64 v[8:9], v[8:9], v[202:203]
	v_add_f64 v[8:9], v[8:9], v[204:205]
	v_add_f64 v[8:9], v[8:9], v[206:207]
	v_add_f64 v[8:9], v[8:9], v[210:211]
	v_add_f64 v[8:9], v[8:9], v[214:215]
	v_add_f64 v[10:11], v[8:9], v[218:219]
	v_add_f64 v[8:9], v[136:137], v[208:209]
	v_add_f64 v[8:9], v[8:9], v[212:213]
	v_add_f64 v[8:9], v[8:9], v[216:217]
	v_add_f64 v[8:9], v[8:9], v[220:221]
	v_add_f64 v[8:9], v[8:9], v[222:223]
	v_add_f64 v[8:9], v[8:9], v[224:225]
	v_add_f64 v[8:9], v[8:9], v[160:161]
	v_fma_f64 v[178:179], s[10:11], v[180:181], v[176:177]
	v_add_f64 v[8:9], v[8:9], v[162:163]
	v_fma_f64 v[174:175], s[20:21], v[182:183], v[150:151]
	v_add_f64 v[178:179], v[136:137], v[178:179]
	v_add_f64 v[8:9], v[8:9], v[164:165]
	;; [unrolled: 1-line block ×6, first 2 shown]
	v_accvgpr_read_b32 v239, a3
	v_add_f64 v[142:143], v[142:143], v[146:147]
	v_add_f64 v[2:3], v[20:21], v[2:3]
	;; [unrolled: 1-line block ×3, first 2 shown]
	v_accvgpr_read_b32 v231, a49
	v_accvgpr_read_b32 v230, a48
	;; [unrolled: 1-line block ×5, first 2 shown]
	v_add_f64 v[140:141], v[140:141], v[142:143]
	v_fmac_f64_e32 v[30:31], s[42:43], v[24:25]
	v_add_f64 v[2:3], v[46:47], v[2:3]
	ds_write_b128 v187, v[8:11]
	v_lshl_add_u32 v8, v184, 4, v226
	v_add_f64 v[26:27], v[26:27], v[140:141]
	v_add_f64 v[2:3], v[30:31], v[2:3]
	ds_write_b128 v8, v[4:7] offset:192
	ds_write_b128 v8, v[0:3] offset:384
	;; [unrolled: 1-line block ×12, first 2 shown]
.LBB0_5:
	s_or_b64 exec, exec, s[14:15]
	s_waitcnt lgkmcnt(0)
	s_barrier
	global_load_dwordx4 v[4:7], v[172:173], off offset:2496
	ds_read_b128 v[0:3], v187
	ds_read_b128 v[136:139], v187 offset:2288
	s_add_u32 s2, s8, 0x9c0
	s_addc_u32 s3, s9, 0
	v_lshlrev_b32_e32 v12, 4, v184
	s_mov_b32 s9, 0x3febb67a
	s_waitcnt vmcnt(0) lgkmcnt(1)
	v_mul_f64 v[8:9], v[2:3], v[6:7]
	v_mul_f64 v[10:11], v[0:1], v[6:7]
	v_fma_f64 v[8:9], v[0:1], v[4:5], -v[8:9]
	v_fmac_f64_e32 v[10:11], v[2:3], v[4:5]
	global_load_dwordx4 v[4:7], v12, s[2:3] offset:832
	ds_read_b128 v[0:3], v187 offset:832
	ds_write_b128 v187, v[8:11]
	s_waitcnt vmcnt(0) lgkmcnt(1)
	v_mul_f64 v[8:9], v[2:3], v[6:7]
	v_mul_f64 v[10:11], v[0:1], v[6:7]
	v_fma_f64 v[8:9], v[0:1], v[4:5], -v[8:9]
	v_fmac_f64_e32 v[10:11], v[2:3], v[4:5]
	global_load_dwordx4 v[4:7], v12, s[2:3] offset:1664
	ds_read_b128 v[0:3], v187 offset:1664
	ds_write_b128 v187, v[8:11] offset:832
	s_waitcnt vmcnt(0) lgkmcnt(1)
	v_mul_f64 v[8:9], v[2:3], v[6:7]
	v_mul_f64 v[10:11], v[0:1], v[6:7]
	v_fma_f64 v[8:9], v[0:1], v[4:5], -v[8:9]
	v_fmac_f64_e32 v[10:11], v[2:3], v[4:5]
	global_load_dwordx4 v[4:7], v12, s[2:3] offset:208
	ds_read_b128 v[0:3], v187 offset:208
	ds_write_b128 v187, v[8:11] offset:1664
	;; [unrolled: 8-line block ×9, first 2 shown]
	s_waitcnt vmcnt(0) lgkmcnt(1)
	v_mul_f64 v[8:9], v[2:3], v[6:7]
	v_mul_f64 v[10:11], v[0:1], v[6:7]
	v_fma_f64 v[8:9], v[0:1], v[4:5], -v[8:9]
	v_fmac_f64_e32 v[10:11], v[2:3], v[4:5]
	global_load_dwordx4 v[0:3], v12, s[2:3] offset:2288
	ds_write_b128 v187, v[8:11] offset:1456
	s_mov_b32 s2, 0xe8584caa
	s_mov_b32 s3, 0xbfebb67a
	;; [unrolled: 1-line block ×3, first 2 shown]
	s_waitcnt vmcnt(0)
	v_mul_f64 v[4:5], v[138:139], v[2:3]
	v_mul_f64 v[6:7], v[136:137], v[2:3]
	v_fma_f64 v[4:5], v[136:137], v[0:1], -v[4:5]
	v_fmac_f64_e32 v[6:7], v[138:139], v[0:1]
	ds_write_b128 v187, v[4:7] offset:2288
	s_waitcnt lgkmcnt(0)
	s_barrier
	ds_read_b128 v[136:139], v187
	ds_read_b128 v[0:3], v187 offset:832
	ds_read_b128 v[4:7], v187 offset:1664
	;; [unrolled: 1-line block ×11, first 2 shown]
	s_waitcnt lgkmcnt(10)
	v_add_f64 v[44:45], v[136:137], v[0:1]
	s_waitcnt lgkmcnt(9)
	v_add_f64 v[140:141], v[44:45], v[4:5]
	v_add_f64 v[44:45], v[0:1], v[4:5]
	v_fmac_f64_e32 v[136:137], -0.5, v[44:45]
	v_add_f64 v[44:45], v[2:3], -v[6:7]
	v_fma_f64 v[144:145], s[2:3], v[44:45], v[136:137]
	v_fmac_f64_e32 v[136:137], s[8:9], v[44:45]
	v_add_f64 v[44:45], v[138:139], v[2:3]
	v_add_f64 v[2:3], v[2:3], v[6:7]
	v_fmac_f64_e32 v[138:139], -0.5, v[2:3]
	v_add_f64 v[0:1], v[0:1], -v[4:5]
	s_waitcnt lgkmcnt(6)
	v_add_f64 v[2:3], v[12:13], v[16:17]
	v_add_f64 v[142:143], v[44:45], v[6:7]
	v_fma_f64 v[146:147], s[8:9], v[0:1], v[138:139]
	v_fmac_f64_e32 v[138:139], s[2:3], v[0:1]
	v_add_f64 v[0:1], v[8:9], v[12:13]
	v_fmac_f64_e32 v[8:9], -0.5, v[2:3]
	v_add_f64 v[2:3], v[14:15], -v[18:19]
	v_add_f64 v[6:7], v[14:15], v[18:19]
	v_fma_f64 v[4:5], s[2:3], v[2:3], v[8:9]
	v_fmac_f64_e32 v[8:9], s[8:9], v[2:3]
	v_add_f64 v[2:3], v[10:11], v[14:15]
	v_fmac_f64_e32 v[10:11], -0.5, v[6:7]
	v_add_f64 v[12:13], v[12:13], -v[16:17]
	s_waitcnt lgkmcnt(3)
	v_add_f64 v[14:15], v[24:25], v[28:29]
	v_add_f64 v[2:3], v[2:3], v[18:19]
	v_fma_f64 v[6:7], s[8:9], v[12:13], v[10:11]
	v_fmac_f64_e32 v[10:11], s[2:3], v[12:13]
	v_add_f64 v[12:13], v[20:21], v[24:25]
	v_fmac_f64_e32 v[20:21], -0.5, v[14:15]
	v_add_f64 v[14:15], v[26:27], -v[30:31]
	v_add_f64 v[18:19], v[26:27], v[30:31]
	v_add_f64 v[0:1], v[0:1], v[16:17]
	v_fma_f64 v[16:17], s[2:3], v[14:15], v[20:21]
	v_fmac_f64_e32 v[20:21], s[8:9], v[14:15]
	v_add_f64 v[14:15], v[22:23], v[26:27]
	v_fmac_f64_e32 v[22:23], -0.5, v[18:19]
	v_add_f64 v[24:25], v[24:25], -v[28:29]
	s_waitcnt lgkmcnt(0)
	v_add_f64 v[26:27], v[36:37], v[40:41]
	v_add_f64 v[14:15], v[14:15], v[30:31]
	v_fma_f64 v[18:19], s[8:9], v[24:25], v[22:23]
	v_fmac_f64_e32 v[22:23], s[2:3], v[24:25]
	v_add_f64 v[24:25], v[32:33], v[36:37]
	v_fmac_f64_e32 v[32:33], -0.5, v[26:27]
	v_add_f64 v[26:27], v[38:39], -v[42:43]
	v_add_f64 v[30:31], v[38:39], v[42:43]
	v_add_f64 v[12:13], v[12:13], v[28:29]
	v_fma_f64 v[28:29], s[2:3], v[26:27], v[32:33]
	v_fmac_f64_e32 v[32:33], s[8:9], v[26:27]
	v_add_f64 v[26:27], v[34:35], v[38:39]
	v_fmac_f64_e32 v[34:35], -0.5, v[30:31]
	v_add_f64 v[36:37], v[36:37], -v[40:41]
	v_add_f64 v[24:25], v[24:25], v[40:41]
	v_add_f64 v[26:27], v[26:27], v[42:43]
	v_fma_f64 v[30:31], s[8:9], v[36:37], v[34:35]
	v_fmac_f64_e32 v[34:35], s[2:3], v[36:37]
	s_barrier
	ds_write_b128 v227, v[140:143]
	ds_write_b128 v227, v[144:147] offset:16
	ds_write_b128 v227, v[136:139] offset:32
	ds_write_b128 v230, v[0:3]
	ds_write_b128 v230, v[4:7] offset:16
	ds_write_b128 v230, v[8:11] offset:32
	;; [unrolled: 3-line block ×3, first 2 shown]
	v_accvgpr_read_b32 v0, a50
	ds_write_b128 v0, v[24:27]
	ds_write_b128 v0, v[28:31] offset:16
	ds_write_b128 v0, v[32:35] offset:32
	s_waitcnt lgkmcnt(0)
	s_barrier
	ds_read_b128 v[0:3], v187
	ds_read_b128 v[4:7], v187 offset:624
	ds_read_b128 v[8:11], v187 offset:1248
	;; [unrolled: 1-line block ×11, first 2 shown]
	s_waitcnt lgkmcnt(10)
	v_mul_f64 v[44:45], v[54:55], v[6:7]
	v_fmac_f64_e32 v[44:45], v[52:53], v[4:5]
	v_mul_f64 v[4:5], v[54:55], v[4:5]
	v_fma_f64 v[4:5], v[52:53], v[6:7], -v[4:5]
	s_waitcnt lgkmcnt(9)
	v_mul_f64 v[6:7], v[50:51], v[10:11]
	v_fmac_f64_e32 v[6:7], v[48:49], v[8:9]
	v_mul_f64 v[8:9], v[50:51], v[8:9]
	v_fma_f64 v[8:9], v[48:49], v[10:11], -v[8:9]
	;; [unrolled: 5-line block ×6, first 2 shown]
	s_waitcnt lgkmcnt(2)
	v_mul_f64 v[30:31], v[78:79], v[38:39]
	v_fmac_f64_e32 v[30:31], v[76:77], v[36:37]
	v_mul_f64 v[36:37], v[78:79], v[36:37]
	v_add_f64 v[6:7], v[0:1], -v[6:7]
	v_add_f64 v[8:9], v[2:3], -v[8:9]
	v_add_f64 v[10:11], v[44:45], -v[10:11]
	v_add_f64 v[12:13], v[4:5], -v[12:13]
	v_fma_f64 v[36:37], v[76:77], v[38:39], -v[36:37]
	s_waitcnt lgkmcnt(1)
	v_mul_f64 v[38:39], v[86:87], v[42:43]
	v_fma_f64 v[0:1], v[0:1], 2.0, -v[6:7]
	v_fma_f64 v[2:3], v[2:3], 2.0, -v[8:9]
	;; [unrolled: 1-line block ×4, first 2 shown]
	v_fmac_f64_e32 v[38:39], v[84:85], v[40:41]
	v_mul_f64 v[40:41], v[86:87], v[40:41]
	v_add_f64 v[56:57], v[0:1], -v[44:45]
	v_add_f64 v[58:59], v[2:3], -v[4:5]
	;; [unrolled: 1-line block ×3, first 2 shown]
	v_fma_f64 v[40:41], v[84:85], v[42:43], -v[40:41]
	s_waitcnt lgkmcnt(0)
	v_mul_f64 v[42:43], v[90:91], v[138:139]
	v_mul_f64 v[46:47], v[90:91], v[136:137]
	v_fma_f64 v[48:49], v[0:1], 2.0, -v[56:57]
	v_fma_f64 v[50:51], v[2:3], 2.0, -v[58:59]
	v_add_f64 v[60:61], v[6:7], v[12:13]
	v_fma_f64 v[54:55], v[8:9], 2.0, -v[62:63]
	v_add_f64 v[0:1], v[16:17], -v[22:23]
	v_add_f64 v[2:3], v[18:19], -v[24:25]
	;; [unrolled: 1-line block ×4, first 2 shown]
	v_fmac_f64_e32 v[42:43], v[88:89], v[136:137]
	v_fma_f64 v[46:47], v[88:89], v[138:139], -v[46:47]
	v_fma_f64 v[52:53], v[6:7], 2.0, -v[60:61]
	v_fma_f64 v[4:5], v[16:17], 2.0, -v[0:1]
	;; [unrolled: 1-line block ×5, first 2 shown]
	v_add_f64 v[136:137], v[0:1], v[10:11]
	v_add_f64 v[138:139], v[2:3], -v[8:9]
	v_add_f64 v[76:77], v[4:5], -v[12:13]
	;; [unrolled: 1-line block ×3, first 2 shown]
	v_fma_f64 v[68:69], v[0:1], 2.0, -v[136:137]
	v_fma_f64 v[70:71], v[2:3], 2.0, -v[138:139]
	v_add_f64 v[0:1], v[32:33], -v[38:39]
	v_add_f64 v[2:3], v[34:35], -v[40:41]
	;; [unrolled: 1-line block ×4, first 2 shown]
	v_fma_f64 v[64:65], v[4:5], 2.0, -v[76:77]
	v_fma_f64 v[66:67], v[6:7], 2.0, -v[78:79]
	;; [unrolled: 1-line block ×6, first 2 shown]
	v_add_f64 v[84:85], v[0:1], v[10:11]
	v_add_f64 v[88:89], v[4:5], -v[12:13]
	v_add_f64 v[90:91], v[6:7], -v[14:15]
	;; [unrolled: 1-line block ×3, first 2 shown]
	v_fma_f64 v[140:141], v[0:1], 2.0, -v[84:85]
	v_accvgpr_read_b32 v0, a52
	v_fma_f64 v[144:145], v[4:5], 2.0, -v[88:89]
	v_fma_f64 v[146:147], v[6:7], 2.0, -v[90:91]
	;; [unrolled: 1-line block ×3, first 2 shown]
	s_barrier
	ds_write_b128 v185, v[48:51]
	ds_write_b128 v185, v[52:55] offset:48
	ds_write_b128 v185, v[56:59] offset:96
	;; [unrolled: 1-line block ×3, first 2 shown]
	ds_write_b128 v0, v[64:67]
	ds_write_b128 v0, v[68:71] offset:48
	ds_write_b128 v0, v[76:79] offset:96
	;; [unrolled: 1-line block ×3, first 2 shown]
	v_accvgpr_read_b32 v0, a51
	ds_write_b128 v0, v[144:147]
	ds_write_b128 v0, v[140:143] offset:48
	ds_write_b128 v0, v[88:91] offset:96
	;; [unrolled: 1-line block ×3, first 2 shown]
	s_waitcnt lgkmcnt(0)
	s_barrier
	s_and_saveexec_b64 s[2:3], vcc
	s_cbranch_execz .LBB0_7
; %bb.6:
	ds_read_b128 v[48:51], v187
	ds_read_b128 v[52:55], v187 offset:192
	ds_read_b128 v[56:59], v187 offset:384
	;; [unrolled: 1-line block ×12, first 2 shown]
.LBB0_7:
	s_or_b64 exec, exec, s[2:3]
	s_and_saveexec_b64 s[2:3], vcc
	s_cbranch_execz .LBB0_9
; %bb.8:
	s_waitcnt lgkmcnt(6)
	v_mul_f64 v[148:149], v[126:127], v[78:79]
	v_mul_f64 v[0:1], v[126:127], v[76:77]
	v_fmac_f64_e32 v[148:149], v[124:125], v[76:77]
	v_fma_f64 v[124:125], v[124:125], v[78:79], -v[0:1]
	s_waitcnt lgkmcnt(5)
	v_mul_f64 v[0:1], v[122:123], v[136:137]
	v_mul_f64 v[150:151], v[122:123], v[138:139]
	v_fma_f64 v[126:127], v[120:121], v[138:139], -v[0:1]
	v_mul_f64 v[0:1], v[110:111], v[68:69]
	v_fmac_f64_e32 v[150:151], v[120:121], v[136:137]
	s_waitcnt lgkmcnt(4)
	v_mul_f64 v[122:123], v[114:115], v[146:147]
	v_fma_f64 v[136:137], v[108:109], v[70:71], -v[0:1]
	v_mul_f64 v[0:1], v[114:115], v[144:145]
	v_fmac_f64_e32 v[122:123], v[112:113], v[144:145]
	v_fma_f64 v[112:113], v[112:113], v[146:147], -v[0:1]
	v_mul_f64 v[0:1], v[98:99], v[64:65]
	v_fma_f64 v[144:145], v[96:97], v[66:67], -v[0:1]
	s_waitcnt lgkmcnt(3)
	v_mul_f64 v[0:1], v[130:131], v[140:141]
	v_mul_f64 v[120:121], v[110:111], v[70:71]
	;; [unrolled: 1-line block ×3, first 2 shown]
	v_fma_f64 v[98:99], v[128:129], v[142:143], -v[0:1]
	v_mul_f64 v[0:1], v[94:95], v[60:61]
	v_mul_f64 v[114:115], v[94:95], v[62:63]
	v_fma_f64 v[94:95], v[92:93], v[62:63], -v[0:1]
	s_waitcnt lgkmcnt(2)
	v_mul_f64 v[0:1], v[118:119], v[88:89]
	v_fmac_f64_e32 v[110:111], v[96:97], v[64:65]
	v_mul_f64 v[96:97], v[118:119], v[90:91]
	v_fma_f64 v[90:91], v[116:117], v[90:91], -v[0:1]
	v_mul_f64 v[0:1], v[82:83], v[56:57]
	v_fmac_f64_e32 v[114:115], v[92:93], v[60:61]
	v_fmac_f64_e32 v[96:97], v[116:117], v[88:89]
	v_mul_f64 v[92:93], v[82:83], v[58:59]
	s_waitcnt lgkmcnt(1)
	v_mul_f64 v[88:89], v[106:107], v[86:87]
	v_fma_f64 v[116:117], v[80:81], v[58:59], -v[0:1]
	v_mul_f64 v[0:1], v[106:107], v[84:85]
	v_fmac_f64_e32 v[92:93], v[80:81], v[56:57]
	v_fmac_f64_e32 v[88:89], v[104:105], v[84:85]
	v_fma_f64 v[82:83], v[104:105], v[86:87], -v[0:1]
	v_mul_f64 v[84:85], v[74:75], v[54:55]
	s_waitcnt lgkmcnt(0)
	v_mul_f64 v[80:81], v[102:103], v[134:135]
	v_mul_f64 v[0:1], v[74:75], v[52:53]
	v_fmac_f64_e32 v[84:85], v[72:73], v[52:53]
	v_fmac_f64_e32 v[80:81], v[100:101], v[132:133]
	s_mov_b32 s28, 0x4bc48dbf
	v_fma_f64 v[104:105], v[72:73], v[54:55], -v[0:1]
	v_mul_f64 v[0:1], v[102:103], v[132:133]
	v_add_f64 v[12:13], v[84:85], -v[80:81]
	s_mov_b32 s29, 0xbfcea1e5
	v_fma_f64 v[86:87], v[100:101], v[134:135], -v[0:1]
	s_mov_b32 s26, 0x93053d00
	v_fmac_f64_e32 v[120:121], v[108:109], v[68:69]
	v_mul_f64 v[108:109], v[130:131], v[142:143]
	s_mov_b32 s20, 0x24c2f84
	v_add_f64 v[4:5], v[92:93], -v[88:89]
	s_mov_b32 s25, 0x3fddbe06
	s_mov_b32 s24, 0x4267c47c
	;; [unrolled: 1-line block ×3, first 2 shown]
	v_mul_f64 v[34:35], v[12:13], s[28:29]
	v_add_f64 v[0:1], v[86:87], v[104:105]
	s_mov_b32 s27, 0xbfef11f4
	v_fmac_f64_e32 v[108:109], v[128:129], v[140:141]
	s_mov_b32 s34, 0x42a4c3d2
	v_add_f64 v[130:131], v[114:115], -v[96:97]
	s_mov_b32 s21, 0xbfe5384d
	s_mov_b32 s16, 0xd0032e0c
	v_mul_f64 v[32:33], v[4:5], s[24:25]
	v_add_f64 v[106:107], v[82:83], v[116:117]
	s_mov_b32 s19, 0x3fec55a7
	v_fma_f64 v[16:17], s[26:27], v[0:1], v[34:35]
	s_mov_b32 s14, 0x2ef20147
	v_add_f64 v[156:157], v[110:111], -v[108:109]
	s_mov_b32 s35, 0x3fea55e2
	s_mov_b32 s12, 0x1ea71119
	v_mul_f64 v[30:31], v[130:131], s[20:21]
	v_add_f64 v[118:119], v[94:95], v[90:91]
	s_mov_b32 s17, 0xbfe7f3cc
	v_fma_f64 v[14:15], s[18:19], v[106:107], v[32:33]
	v_add_f64 v[16:17], v[50:51], v[16:17]
	v_fma_f64 v[34:35], v[0:1], s[26:27], -v[34:35]
	v_add_f64 v[154:155], v[120:121], -v[122:123]
	s_mov_b32 s15, 0xbfedeba7
	s_mov_b32 s10, 0xb2365da1
	v_mul_f64 v[28:29], v[156:157], s[34:35]
	v_add_f64 v[128:129], v[144:145], v[98:99]
	s_mov_b32 s13, 0x3fe22d96
	v_fma_f64 v[10:11], s[16:17], v[118:119], v[30:31]
	v_add_f64 v[14:15], v[14:15], v[16:17]
	v_add_f64 v[132:133], v[104:105], -v[86:87]
	v_fma_f64 v[32:33], v[106:107], s[18:19], -v[32:33]
	v_add_f64 v[34:35], v[50:51], v[34:35]
	s_mov_b32 s22, 0x66966769
	v_mul_f64 v[26:27], v[154:155], s[14:15]
	v_add_f64 v[146:147], v[112:113], v[136:137]
	s_mov_b32 s11, 0xbfd6b1d8
	v_fma_f64 v[8:9], s[12:13], v[128:129], v[28:29]
	v_add_f64 v[10:11], v[10:11], v[14:15]
	v_add_f64 v[22:23], v[116:117], -v[82:83]
	v_add_f64 v[102:103], v[80:81], v[84:85]
	v_mul_f64 v[62:63], v[132:133], s[28:29]
	v_fma_f64 v[30:31], v[118:119], s[16:17], -v[30:31]
	v_add_f64 v[32:33], v[32:33], v[34:35]
	v_add_f64 v[152:153], v[148:149], -v[150:151]
	s_mov_b32 s23, 0x3fefc445
	s_mov_b32 s8, 0xebaa3ed8
	v_fma_f64 v[6:7], s[10:11], v[146:147], v[26:27]
	v_add_f64 v[8:9], v[8:9], v[10:11]
	v_add_f64 v[20:21], v[94:95], -v[90:91]
	v_add_f64 v[10:11], v[88:89], v[92:93]
	v_mul_f64 v[60:61], v[22:23], s[24:25]
	v_fma_f64 v[64:65], v[102:103], s[26:27], -v[62:63]
	v_fma_f64 v[28:29], v[128:129], s[12:13], -v[28:29]
	v_add_f64 v[30:31], v[30:31], v[32:33]
	v_mul_f64 v[24:25], v[152:153], s[22:23]
	v_add_f64 v[138:139], v[126:127], v[124:125]
	s_mov_b32 s9, 0x3fbedb7d
	v_add_f64 v[6:7], v[6:7], v[8:9]
	v_add_f64 v[8:9], v[114:115], v[96:97]
	v_mul_f64 v[56:57], v[20:21], s[20:21]
	v_fma_f64 v[58:59], v[10:11], s[18:19], -v[60:61]
	v_add_f64 v[64:65], v[48:49], v[64:65]
	v_fma_f64 v[26:27], v[146:147], s[10:11], -v[26:27]
	v_add_f64 v[28:29], v[28:29], v[30:31]
	v_fma_f64 v[2:3], s[8:9], v[138:139], v[24:25]
	v_fma_f64 v[52:53], v[8:9], s[16:17], -v[56:57]
	v_add_f64 v[58:59], v[58:59], v[64:65]
	v_fma_f64 v[24:25], v[138:139], s[8:9], -v[24:25]
	v_add_f64 v[26:27], v[26:27], v[28:29]
	v_fmac_f64_e32 v[62:63], s[26:27], v[102:103]
	v_add_f64 v[18:19], v[144:145], -v[98:99]
	v_add_f64 v[52:53], v[52:53], v[58:59]
	v_add_f64 v[58:59], v[24:25], v[26:27]
	v_fmac_f64_e32 v[60:61], s[18:19], v[10:11]
	v_add_f64 v[24:25], v[48:49], v[62:63]
	v_add_f64 v[16:17], v[136:137], -v[112:113]
	v_add_f64 v[100:101], v[110:111], v[108:109]
	v_mul_f64 v[44:45], v[18:19], s[34:35]
	v_fmac_f64_e32 v[56:57], s[16:17], v[8:9]
	v_add_f64 v[24:25], v[60:61], v[24:25]
	v_add_f64 v[54:55], v[2:3], v[6:7]
	v_add_f64 v[14:15], v[124:125], -v[126:127]
	v_add_f64 v[6:7], v[122:123], v[120:121]
	v_mul_f64 v[40:41], v[16:17], s[14:15]
	v_fma_f64 v[46:47], v[100:101], s[12:13], -v[44:45]
	v_fmac_f64_e32 v[44:45], s[12:13], v[100:101]
	v_add_f64 v[24:25], v[56:57], v[24:25]
	v_add_f64 v[2:3], v[150:151], v[148:149]
	v_mul_f64 v[36:37], v[14:15], s[22:23]
	v_fma_f64 v[42:43], v[6:7], s[10:11], -v[40:41]
	v_add_f64 v[46:47], v[46:47], v[52:53]
	v_fmac_f64_e32 v[40:41], s[10:11], v[6:7]
	v_add_f64 v[24:25], v[44:45], v[24:25]
	v_mul_f64 v[44:45], v[12:13], s[20:21]
	v_fma_f64 v[38:39], v[2:3], s[8:9], -v[36:37]
	v_add_f64 v[42:43], v[42:43], v[46:47]
	v_fmac_f64_e32 v[36:37], s[8:9], v[2:3]
	v_add_f64 v[24:25], v[40:41], v[24:25]
	s_mov_b32 s31, 0xbfea55e2
	s_mov_b32 s30, s34
	v_mul_f64 v[40:41], v[4:5], s[22:23]
	v_fma_f64 v[46:47], s[16:17], v[0:1], v[44:45]
	v_add_f64 v[52:53], v[38:39], v[42:43]
	v_add_f64 v[56:57], v[36:37], v[24:25]
	s_mov_b32 s41, 0x3fcea1e5
	s_mov_b32 s40, s28
	v_mul_f64 v[36:37], v[130:131], s[30:31]
	v_fma_f64 v[42:43], s[8:9], v[106:107], v[40:41]
	v_add_f64 v[46:47], v[50:51], v[46:47]
	v_mul_f64 v[70:71], v[132:133], s[20:21]
	v_mul_f64 v[32:33], v[156:157], s[40:41]
	v_fma_f64 v[38:39], s[12:13], v[118:119], v[36:37]
	v_add_f64 v[42:43], v[42:43], v[46:47]
	v_mul_f64 v[68:69], v[22:23], s[22:23]
	v_fma_f64 v[72:73], v[102:103], s[16:17], -v[70:71]
	v_mul_f64 v[28:29], v[154:155], s[24:25]
	v_fma_f64 v[34:35], s[26:27], v[128:129], v[32:33]
	v_add_f64 v[38:39], v[38:39], v[42:43]
	v_mul_f64 v[64:65], v[20:21], s[30:31]
	v_fma_f64 v[66:67], v[10:11], s[8:9], -v[68:69]
	v_add_f64 v[72:73], v[48:49], v[72:73]
	v_mul_f64 v[24:25], v[152:153], s[14:15]
	v_fma_f64 v[30:31], s[18:19], v[146:147], v[28:29]
	v_add_f64 v[34:35], v[34:35], v[38:39]
	v_mul_f64 v[42:43], v[18:19], s[40:41]
	v_fma_f64 v[60:61], v[8:9], s[12:13], -v[64:65]
	v_add_f64 v[66:67], v[66:67], v[72:73]
	v_fma_f64 v[26:27], s[10:11], v[138:139], v[24:25]
	v_add_f64 v[30:31], v[30:31], v[34:35]
	v_mul_f64 v[34:35], v[16:17], s[24:25]
	v_fma_f64 v[46:47], v[100:101], s[26:27], -v[42:43]
	v_add_f64 v[60:61], v[60:61], v[66:67]
	v_add_f64 v[62:63], v[26:27], v[30:31]
	v_mul_f64 v[26:27], v[14:15], s[14:15]
	v_fma_f64 v[38:39], v[6:7], s[18:19], -v[34:35]
	v_add_f64 v[46:47], v[46:47], v[60:61]
	v_fma_f64 v[30:31], v[2:3], s[10:11], -v[26:27]
	v_add_f64 v[38:39], v[38:39], v[46:47]
	v_add_f64 v[60:61], v[30:31], v[38:39]
	v_fma_f64 v[38:39], v[0:1], s[16:17], -v[44:45]
	v_fma_f64 v[30:31], v[128:129], s[26:27], -v[32:33]
	v_fma_f64 v[32:33], v[118:119], s[12:13], -v[36:37]
	v_fma_f64 v[36:37], v[106:107], s[8:9], -v[40:41]
	v_add_f64 v[38:39], v[50:51], v[38:39]
	v_add_f64 v[36:37], v[36:37], v[38:39]
	;; [unrolled: 1-line block ×3, first 2 shown]
	v_fma_f64 v[28:29], v[146:147], s[18:19], -v[28:29]
	v_add_f64 v[30:31], v[30:31], v[32:33]
	v_fma_f64 v[24:25], v[138:139], s[10:11], -v[24:25]
	v_add_f64 v[28:29], v[28:29], v[30:31]
	v_fmac_f64_e32 v[70:71], s[16:17], v[102:103]
	v_add_f64 v[66:67], v[24:25], v[28:29]
	v_fmac_f64_e32 v[68:69], s[8:9], v[10:11]
	;; [unrolled: 2-line block ×3, first 2 shown]
	v_add_f64 v[24:25], v[68:69], v[24:25]
	s_mov_b32 s39, 0x3fe5384d
	s_mov_b32 s38, s20
	v_mul_f64 v[44:45], v[12:13], s[14:15]
	v_fmac_f64_e32 v[42:43], s[26:27], v[100:101]
	v_add_f64 v[24:25], v[64:65], v[24:25]
	v_mul_f64 v[40:41], v[4:5], s[38:39]
	v_fma_f64 v[46:47], s[10:11], v[0:1], v[44:45]
	v_add_f64 v[24:25], v[42:43], v[24:25]
	s_mov_b32 s37, 0xbfefc445
	s_mov_b32 s36, s22
	v_mul_f64 v[36:37], v[130:131], s[24:25]
	v_fma_f64 v[42:43], s[16:17], v[106:107], v[40:41]
	v_add_f64 v[46:47], v[50:51], v[46:47]
	v_mul_f64 v[78:79], v[132:133], s[14:15]
	v_fmac_f64_e32 v[34:35], s[18:19], v[6:7]
	v_mul_f64 v[32:33], v[156:157], s[36:37]
	v_fma_f64 v[38:39], s[18:19], v[118:119], v[36:37]
	v_add_f64 v[42:43], v[42:43], v[46:47]
	v_mul_f64 v[76:77], v[22:23], s[38:39]
	v_fma_f64 v[134:135], v[102:103], s[10:11], -v[78:79]
	v_fmac_f64_e32 v[26:27], s[10:11], v[2:3]
	v_add_f64 v[24:25], v[34:35], v[24:25]
	v_mul_f64 v[28:29], v[154:155], s[40:41]
	v_fma_f64 v[34:35], s[8:9], v[128:129], v[32:33]
	v_add_f64 v[38:39], v[38:39], v[42:43]
	v_mul_f64 v[72:73], v[20:21], s[24:25]
	v_fma_f64 v[74:75], v[10:11], s[16:17], -v[76:77]
	v_add_f64 v[134:135], v[48:49], v[134:135]
	v_add_f64 v[64:65], v[26:27], v[24:25]
	v_mul_f64 v[24:25], v[152:153], s[34:35]
	v_fma_f64 v[30:31], s[26:27], v[146:147], v[28:29]
	v_add_f64 v[34:35], v[34:35], v[38:39]
	v_mul_f64 v[42:43], v[18:19], s[36:37]
	v_fma_f64 v[68:69], v[8:9], s[18:19], -v[72:73]
	v_add_f64 v[74:75], v[74:75], v[134:135]
	v_fma_f64 v[26:27], s[12:13], v[138:139], v[24:25]
	v_add_f64 v[30:31], v[30:31], v[34:35]
	v_mul_f64 v[34:35], v[16:17], s[40:41]
	v_fma_f64 v[46:47], v[100:101], s[8:9], -v[42:43]
	v_add_f64 v[68:69], v[68:69], v[74:75]
	v_add_f64 v[70:71], v[26:27], v[30:31]
	v_mul_f64 v[26:27], v[14:15], s[34:35]
	v_fma_f64 v[38:39], v[6:7], s[26:27], -v[34:35]
	v_add_f64 v[46:47], v[46:47], v[68:69]
	v_fma_f64 v[30:31], v[2:3], s[12:13], -v[26:27]
	v_add_f64 v[38:39], v[38:39], v[46:47]
	v_add_f64 v[68:69], v[30:31], v[38:39]
	v_fma_f64 v[38:39], v[0:1], s[10:11], -v[44:45]
	v_fma_f64 v[30:31], v[128:129], s[8:9], -v[32:33]
	v_fma_f64 v[32:33], v[118:119], s[18:19], -v[36:37]
	v_fma_f64 v[36:37], v[106:107], s[16:17], -v[40:41]
	v_add_f64 v[38:39], v[50:51], v[38:39]
	v_add_f64 v[36:37], v[36:37], v[38:39]
	;; [unrolled: 1-line block ×3, first 2 shown]
	v_fma_f64 v[28:29], v[146:147], s[26:27], -v[28:29]
	v_add_f64 v[30:31], v[30:31], v[32:33]
	v_fma_f64 v[24:25], v[138:139], s[12:13], -v[24:25]
	v_add_f64 v[28:29], v[28:29], v[30:31]
	v_fmac_f64_e32 v[78:79], s[10:11], v[102:103]
	v_add_f64 v[74:75], v[24:25], v[28:29]
	v_fmac_f64_e32 v[76:77], s[16:17], v[10:11]
	;; [unrolled: 2-line block ×3, first 2 shown]
	v_add_f64 v[24:25], v[76:77], v[24:25]
	v_mul_f64 v[44:45], v[12:13], s[36:37]
	v_fmac_f64_e32 v[42:43], s[8:9], v[100:101]
	v_add_f64 v[24:25], v[72:73], v[24:25]
	s_mov_b32 s35, 0x3fedeba7
	s_mov_b32 s34, s14
	v_mul_f64 v[40:41], v[4:5], s[28:29]
	v_fma_f64 v[46:47], s[8:9], v[0:1], v[44:45]
	v_add_f64 v[24:25], v[42:43], v[24:25]
	v_mul_f64 v[36:37], v[130:131], s[34:35]
	v_fma_f64 v[42:43], s[26:27], v[106:107], v[40:41]
	v_add_f64 v[46:47], v[50:51], v[46:47]
	v_mul_f64 v[158:159], v[132:133], s[36:37]
	v_fmac_f64_e32 v[34:35], s[26:27], v[6:7]
	v_mul_f64 v[32:33], v[156:157], s[24:25]
	v_fma_f64 v[38:39], s[10:11], v[118:119], v[36:37]
	v_add_f64 v[42:43], v[42:43], v[46:47]
	v_mul_f64 v[140:141], v[22:23], s[28:29]
	v_fma_f64 v[160:161], v[102:103], s[8:9], -v[158:159]
	v_fmac_f64_e32 v[26:27], s[12:13], v[2:3]
	v_add_f64 v[24:25], v[34:35], v[24:25]
	v_mul_f64 v[28:29], v[154:155], s[30:31]
	v_fma_f64 v[34:35], s[18:19], v[128:129], v[32:33]
	v_add_f64 v[38:39], v[38:39], v[42:43]
	v_mul_f64 v[134:135], v[20:21], s[34:35]
	v_fma_f64 v[142:143], v[10:11], s[26:27], -v[140:141]
	v_add_f64 v[160:161], v[48:49], v[160:161]
	v_add_f64 v[72:73], v[26:27], v[24:25]
	v_mul_f64 v[24:25], v[152:153], s[20:21]
	v_fma_f64 v[30:31], s[12:13], v[146:147], v[28:29]
	v_add_f64 v[34:35], v[34:35], v[38:39]
	v_mul_f64 v[42:43], v[18:19], s[24:25]
	v_fma_f64 v[76:77], v[8:9], s[10:11], -v[134:135]
	v_add_f64 v[142:143], v[142:143], v[160:161]
	v_fma_f64 v[26:27], s[16:17], v[138:139], v[24:25]
	v_add_f64 v[30:31], v[30:31], v[34:35]
	v_mul_f64 v[34:35], v[16:17], s[30:31]
	v_fma_f64 v[46:47], v[100:101], s[18:19], -v[42:43]
	v_add_f64 v[76:77], v[76:77], v[142:143]
	v_add_f64 v[78:79], v[26:27], v[30:31]
	v_mul_f64 v[30:31], v[14:15], s[20:21]
	v_fma_f64 v[38:39], v[6:7], s[12:13], -v[34:35]
	v_add_f64 v[46:47], v[46:47], v[76:77]
	v_fma_f64 v[26:27], v[2:3], s[16:17], -v[30:31]
	v_add_f64 v[38:39], v[38:39], v[46:47]
	v_add_f64 v[76:77], v[26:27], v[38:39]
	v_fma_f64 v[38:39], v[0:1], s[8:9], -v[44:45]
	v_fma_f64 v[26:27], v[146:147], s[12:13], -v[28:29]
	;; [unrolled: 1-line block ×5, first 2 shown]
	v_add_f64 v[38:39], v[50:51], v[38:39]
	v_add_f64 v[36:37], v[36:37], v[38:39]
	;; [unrolled: 1-line block ×4, first 2 shown]
	v_fma_f64 v[24:25], v[138:139], s[16:17], -v[24:25]
	v_add_f64 v[26:27], v[26:27], v[28:29]
	v_fmac_f64_e32 v[158:159], s[8:9], v[102:103]
	v_add_f64 v[26:27], v[24:25], v[26:27]
	v_fmac_f64_e32 v[140:141], s[26:27], v[10:11]
	;; [unrolled: 2-line block ×3, first 2 shown]
	v_add_f64 v[24:25], v[140:141], v[24:25]
	v_add_f64 v[24:25], v[134:135], v[24:25]
	v_mul_f64 v[134:135], v[12:13], s[30:31]
	v_mul_f64 v[44:45], v[4:5], s[14:15]
	v_fma_f64 v[140:141], s[12:13], v[0:1], v[134:135]
	v_mul_f64 v[166:167], v[132:133], s[30:31]
	v_fmac_f64_e32 v[42:43], s[18:19], v[100:101]
	v_mul_f64 v[40:41], v[130:131], s[28:29]
	v_fma_f64 v[46:47], s[10:11], v[106:107], v[44:45]
	v_add_f64 v[140:141], v[50:51], v[140:141]
	v_mul_f64 v[162:163], v[22:23], s[14:15]
	v_fma_f64 v[168:169], v[102:103], s[12:13], -v[166:167]
	v_fmac_f64_e32 v[34:35], s[12:13], v[6:7]
	v_add_f64 v[24:25], v[42:43], v[24:25]
	v_mul_f64 v[36:37], v[156:157], s[38:39]
	v_fma_f64 v[42:43], s[26:27], v[118:119], v[40:41]
	v_add_f64 v[46:47], v[46:47], v[140:141]
	v_mul_f64 v[158:159], v[20:21], s[28:29]
	v_fma_f64 v[164:165], v[10:11], s[10:11], -v[162:163]
	v_add_f64 v[168:169], v[48:49], v[168:169]
	v_fmac_f64_e32 v[30:31], s[16:17], v[2:3]
	v_add_f64 v[24:25], v[34:35], v[24:25]
	v_mul_f64 v[34:35], v[154:155], s[22:23]
	v_fma_f64 v[38:39], s[16:17], v[128:129], v[36:37]
	v_add_f64 v[42:43], v[42:43], v[46:47]
	v_mul_f64 v[140:141], v[18:19], s[38:39]
	v_fma_f64 v[160:161], v[8:9], s[26:27], -v[158:159]
	v_add_f64 v[164:165], v[164:165], v[168:169]
	v_add_f64 v[24:25], v[30:31], v[24:25]
	v_mul_f64 v[32:33], v[152:153], s[24:25]
	v_fma_f64 v[30:31], s[8:9], v[146:147], v[34:35]
	v_add_f64 v[38:39], v[38:39], v[42:43]
	v_mul_f64 v[42:43], v[16:17], s[22:23]
	v_fma_f64 v[142:143], v[100:101], s[16:17], -v[140:141]
	v_add_f64 v[160:161], v[160:161], v[164:165]
	v_fma_f64 v[28:29], s[18:19], v[138:139], v[32:33]
	v_add_f64 v[30:31], v[30:31], v[38:39]
	v_mul_f64 v[38:39], v[14:15], s[24:25]
	v_fma_f64 v[46:47], v[6:7], s[8:9], -v[42:43]
	v_add_f64 v[142:143], v[142:143], v[160:161]
	v_add_f64 v[30:31], v[28:29], v[30:31]
	v_fma_f64 v[28:29], v[2:3], s[18:19], -v[38:39]
	v_add_f64 v[46:47], v[46:47], v[142:143]
	v_add_f64 v[28:29], v[28:29], v[46:47]
	v_fma_f64 v[46:47], v[0:1], s[12:13], -v[134:135]
	v_fma_f64 v[44:45], v[106:107], s[10:11], -v[44:45]
	v_add_f64 v[46:47], v[50:51], v[46:47]
	v_fma_f64 v[40:41], v[118:119], s[26:27], -v[40:41]
	v_add_f64 v[44:45], v[44:45], v[46:47]
	;; [unrolled: 2-line block ×5, first 2 shown]
	v_fmac_f64_e32 v[166:167], s[12:13], v[102:103]
	v_add_f64 v[34:35], v[32:33], v[34:35]
	v_fmac_f64_e32 v[162:163], s[10:11], v[10:11]
	v_add_f64 v[32:33], v[48:49], v[166:167]
	s_mov_b32 s25, 0xbfddbe06
	v_fmac_f64_e32 v[158:159], s[26:27], v[8:9]
	v_add_f64 v[32:33], v[162:163], v[32:33]
	v_mul_f64 v[12:13], v[12:13], s[24:25]
	v_fmac_f64_e32 v[140:141], s[16:17], v[100:101]
	v_add_f64 v[32:33], v[158:159], v[32:33]
	v_mul_f64 v[4:5], v[4:5], s[30:31]
	v_fma_f64 v[142:143], s[18:19], v[0:1], v[12:13]
	v_mul_f64 v[132:133], v[132:133], s[24:25]
	v_add_f64 v[32:33], v[140:141], v[32:33]
	v_mul_f64 v[40:41], v[152:153], s[28:29]
	v_mul_f64 v[130:131], v[130:131], s[36:37]
	v_fma_f64 v[140:141], s[12:13], v[106:107], v[4:5]
	v_add_f64 v[142:143], v[50:51], v[142:143]
	v_mul_f64 v[22:23], v[22:23], s[30:31]
	v_fma_f64 v[152:153], v[102:103], s[18:19], -v[132:133]
	v_fmac_f64_e32 v[42:43], s[8:9], v[6:7]
	v_mul_f64 v[44:45], v[156:157], s[14:15]
	v_fma_f64 v[134:135], s[8:9], v[118:119], v[130:131]
	v_add_f64 v[140:141], v[140:141], v[142:143]
	v_mul_f64 v[20:21], v[20:21], s[36:37]
	v_fma_f64 v[142:143], v[10:11], s[12:13], -v[22:23]
	v_add_f64 v[152:153], v[48:49], v[152:153]
	v_fmac_f64_e32 v[38:39], s[18:19], v[2:3]
	v_add_f64 v[32:33], v[42:43], v[32:33]
	v_mul_f64 v[42:43], v[154:155], s[20:21]
	v_fma_f64 v[46:47], s[10:11], v[128:129], v[44:45]
	v_add_f64 v[134:135], v[134:135], v[140:141]
	v_mul_f64 v[18:19], v[18:19], s[14:15]
	v_fma_f64 v[140:141], v[8:9], s[8:9], -v[20:21]
	v_add_f64 v[142:143], v[142:143], v[152:153]
	v_add_f64 v[32:33], v[38:39], v[32:33]
	v_fma_f64 v[38:39], s[16:17], v[146:147], v[42:43]
	v_add_f64 v[46:47], v[46:47], v[134:135]
	v_mul_f64 v[16:17], v[16:17], s[20:21]
	v_fma_f64 v[134:135], v[100:101], s[10:11], -v[18:19]
	v_add_f64 v[140:141], v[140:141], v[142:143]
	v_fma_f64 v[36:37], s[26:27], v[138:139], v[40:41]
	v_add_f64 v[38:39], v[38:39], v[46:47]
	v_mul_f64 v[14:15], v[14:15], s[28:29]
	v_fma_f64 v[46:47], v[6:7], s[16:17], -v[16:17]
	v_add_f64 v[134:135], v[134:135], v[140:141]
	v_fma_f64 v[0:1], v[0:1], s[18:19], -v[12:13]
	v_add_f64 v[38:39], v[36:37], v[38:39]
	;; [unrolled: 2-line block ×4, first 2 shown]
	v_add_f64 v[36:37], v[36:37], v[46:47]
	v_fma_f64 v[46:47], v[118:119], s[8:9], -v[130:131]
	v_add_f64 v[0:1], v[4:5], v[0:1]
	v_fma_f64 v[44:45], v[128:129], s[10:11], -v[44:45]
	;; [unrolled: 2-line block ×4, first 2 shown]
	v_add_f64 v[0:1], v[42:43], v[0:1]
	v_fmac_f64_e32 v[132:133], s[18:19], v[102:103]
	v_add_f64 v[4:5], v[40:41], v[0:1]
	v_fmac_f64_e32 v[22:23], s[12:13], v[10:11]
	;; [unrolled: 2-line block ×6, first 2 shown]
	v_add_f64 v[0:1], v[16:17], v[0:1]
	v_add_f64 v[2:3], v[14:15], v[0:1]
	;; [unrolled: 1-line block ×26, first 2 shown]
	v_lshl_add_u32 v0, v184, 4, v226
	ds_write_b128 v187, v[6:9]
	ds_write_b128 v0, v[2:5] offset:192
	ds_write_b128 v0, v[32:35] offset:384
	;; [unrolled: 1-line block ×12, first 2 shown]
.LBB0_9:
	s_or_b64 exec, exec, s[2:3]
	s_waitcnt lgkmcnt(0)
	s_barrier
	ds_read_b128 v[0:3], v187
	v_mov_b32_e32 v12, s0
	v_mov_b32_e32 v13, s1
	v_mad_u64_u32 v[14:15], s[0:1], s6, v186, 0
	v_mov_b32_e32 v4, v15
	v_accvgpr_read_b32 v16, a20
	v_mad_u64_u32 v[4:5], s[0:1], s7, v186, v[4:5]
	v_accvgpr_read_b32 v18, a22
	v_accvgpr_read_b32 v19, a23
	v_mov_b32_e32 v15, v4
	ds_read_b128 v[4:7], v187 offset:208
	v_accvgpr_read_b32 v17, a21
	s_waitcnt lgkmcnt(1)
	v_mul_f64 v[8:9], v[18:19], v[2:3]
	v_fmac_f64_e32 v[8:9], v[16:17], v[0:1]
	s_mov_b32 s0, 0x1a41a41a
	v_mul_f64 v[0:1], v[18:19], v[0:1]
	s_mov_b32 s1, 0x3f7a41a4
	v_fma_f64 v[0:1], v[16:17], v[2:3], -v[0:1]
	v_mad_u64_u32 v[16:17], s[2:3], s4, v184, 0
	v_mul_f64 v[10:11], v[0:1], s[0:1]
	v_mov_b32_e32 v0, v17
	v_mad_u64_u32 v[0:1], s[2:3], s5, v184, v[0:1]
	v_mov_b32_e32 v17, v0
	ds_read_b128 v[0:3], v187 offset:832
	v_lshl_add_u64 v[12:13], v[14:15], 4, v[12:13]
	v_accvgpr_read_b32 v21, a11
	v_mul_f64 v[8:9], v[8:9], s[0:1]
	v_lshl_add_u64 v[16:17], v[16:17], 4, v[12:13]
	v_accvgpr_read_b32 v20, a10
	global_store_dwordx4 v[16:17], v[8:11], off
	ds_read_b128 v[8:11], v187 offset:1040
	v_accvgpr_read_b32 v19, a9
	v_accvgpr_read_b32 v18, a8
	s_waitcnt lgkmcnt(1)
	v_mul_f64 v[12:13], v[20:21], v[2:3]
	v_fmac_f64_e32 v[12:13], v[18:19], v[0:1]
	v_mul_f64 v[0:1], v[20:21], v[0:1]
	v_fma_f64 v[0:1], v[18:19], v[2:3], -v[0:1]
	v_mul_f64 v[14:15], v[0:1], s[0:1]
	ds_read_b128 v[0:3], v187 offset:1664
	v_mov_b32_e32 v22, 0x340
	v_mad_u64_u32 v[20:21], s[2:3], s4, v22, v[16:17]
	s_mul_i32 s2, s5, 0x340
	v_accvgpr_read_b32 v27, a15
	v_mul_f64 v[12:13], v[12:13], s[0:1]
	v_add_u32_e32 v21, s2, v21
	v_accvgpr_read_b32 v26, a14
	global_store_dwordx4 v[20:21], v[12:15], off
	ds_read_b128 v[12:15], v187 offset:1872
	v_accvgpr_read_b32 v25, a13
	v_accvgpr_read_b32 v24, a12
	s_waitcnt lgkmcnt(1)
	v_mul_f64 v[16:17], v[26:27], v[2:3]
	v_fmac_f64_e32 v[16:17], v[24:25], v[0:1]
	v_mul_f64 v[0:1], v[26:27], v[0:1]
	v_fma_f64 v[0:1], v[24:25], v[2:3], -v[0:1]
	v_mad_u64_u32 v[20:21], s[6:7], s4, v22, v[20:21]
	v_mul_f64 v[16:17], v[16:17], s[0:1]
	v_mul_f64 v[18:19], v[0:1], s[0:1]
	v_add_u32_e32 v21, s2, v21
	global_store_dwordx4 v[20:21], v[16:19], off
	v_mov_b32_e32 v23, 0xfffffa50
	s_mul_i32 s3, s5, 0xfffffa50
	v_accvgpr_read_b32 v16, a32
	v_accvgpr_read_b32 v18, a34
	v_accvgpr_read_b32 v19, a35
	v_accvgpr_read_b32 v17, a33
	v_mul_f64 v[0:1], v[18:19], v[6:7]
	v_mul_f64 v[2:3], v[18:19], v[4:5]
	v_fmac_f64_e32 v[0:1], v[16:17], v[4:5]
	v_fma_f64 v[2:3], v[16:17], v[6:7], -v[2:3]
	v_mad_u64_u32 v[4:5], s[6:7], s4, v23, v[20:21]
	s_sub_i32 s3, s3, s4
	v_accvgpr_read_b32 v16, a40
	v_mul_f64 v[0:1], v[0:1], s[0:1]
	v_mul_f64 v[2:3], v[2:3], s[0:1]
	v_add_u32_e32 v5, s3, v5
	v_accvgpr_read_b32 v18, a42
	v_accvgpr_read_b32 v19, a43
	global_store_dwordx4 v[4:5], v[0:3], off
	v_accvgpr_read_b32 v17, a41
	s_nop 0
	v_mul_f64 v[0:1], v[18:19], v[10:11]
	v_mul_f64 v[2:3], v[18:19], v[8:9]
	v_fmac_f64_e32 v[0:1], v[16:17], v[8:9]
	v_fma_f64 v[2:3], v[16:17], v[10:11], -v[2:3]
	v_mad_u64_u32 v[8:9], s[6:7], s4, v22, v[4:5]
	v_accvgpr_read_b32 v4, a44
	v_mul_f64 v[0:1], v[0:1], s[0:1]
	v_mul_f64 v[2:3], v[2:3], s[0:1]
	v_add_u32_e32 v9, s2, v9
	v_accvgpr_read_b32 v6, a46
	v_accvgpr_read_b32 v7, a47
	global_store_dwordx4 v[8:9], v[0:3], off
	v_accvgpr_read_b32 v5, a45
	v_accvgpr_read_b32 v21, a7
	s_waitcnt lgkmcnt(0)
	v_mul_f64 v[0:1], v[6:7], v[14:15]
	v_mul_f64 v[2:3], v[6:7], v[12:13]
	v_fmac_f64_e32 v[0:1], v[4:5], v[12:13]
	v_fma_f64 v[2:3], v[4:5], v[14:15], -v[2:3]
	ds_read_b128 v[4:7], v187 offset:416
	v_mad_u64_u32 v[12:13], s[6:7], s4, v22, v[8:9]
	v_accvgpr_read_b32 v14, a16
	v_mul_f64 v[0:1], v[0:1], s[0:1]
	v_mul_f64 v[2:3], v[2:3], s[0:1]
	v_add_u32_e32 v13, s2, v13
	v_accvgpr_read_b32 v16, a18
	v_accvgpr_read_b32 v17, a19
	global_store_dwordx4 v[12:13], v[0:3], off
	ds_read_b128 v[0:3], v187 offset:624
	v_accvgpr_read_b32 v15, a17
	s_waitcnt lgkmcnt(1)
	v_mul_f64 v[8:9], v[16:17], v[6:7]
	v_fmac_f64_e32 v[8:9], v[14:15], v[4:5]
	v_mul_f64 v[4:5], v[16:17], v[4:5]
	v_fma_f64 v[4:5], v[14:15], v[6:7], -v[4:5]
	v_mul_f64 v[10:11], v[4:5], s[0:1]
	ds_read_b128 v[4:7], v187 offset:1248
	v_mad_u64_u32 v[16:17], s[6:7], s4, v23, v[12:13]
	v_mul_f64 v[8:9], v[8:9], s[0:1]
	v_add_u32_e32 v17, s3, v17
	v_accvgpr_read_b32 v20, a6
	global_store_dwordx4 v[16:17], v[8:11], off
	ds_read_b128 v[8:11], v187 offset:1456
	v_accvgpr_read_b32 v19, a5
	v_accvgpr_read_b32 v18, a4
	s_waitcnt lgkmcnt(1)
	v_mul_f64 v[12:13], v[20:21], v[6:7]
	v_fmac_f64_e32 v[12:13], v[18:19], v[4:5]
	v_mul_f64 v[4:5], v[20:21], v[4:5]
	v_fma_f64 v[4:5], v[18:19], v[6:7], -v[4:5]
	v_mul_f64 v[14:15], v[4:5], s[0:1]
	ds_read_b128 v[4:7], v187 offset:2080
	v_mad_u64_u32 v[20:21], s[6:7], s4, v22, v[16:17]
	v_mul_f64 v[12:13], v[12:13], s[0:1]
	v_add_u32_e32 v21, s2, v21
	global_store_dwordx4 v[20:21], v[12:15], off
	ds_read_b128 v[12:15], v187 offset:2288
	s_waitcnt lgkmcnt(1)
	v_mul_f64 v[16:17], v[238:239], v[6:7]
	v_fmac_f64_e32 v[16:17], v[236:237], v[4:5]
	v_mul_f64 v[4:5], v[238:239], v[4:5]
	v_fma_f64 v[4:5], v[236:237], v[6:7], -v[4:5]
	v_mad_u64_u32 v[20:21], s[6:7], s4, v22, v[20:21]
	v_mul_f64 v[16:17], v[16:17], s[0:1]
	v_mul_f64 v[18:19], v[4:5], s[0:1]
	v_add_u32_e32 v21, s2, v21
	global_store_dwordx4 v[20:21], v[16:19], off
	s_nop 1
	v_accvgpr_read_b32 v16, a24
	v_accvgpr_read_b32 v18, a26
	;; [unrolled: 1-line block ×4, first 2 shown]
	v_mul_f64 v[4:5], v[18:19], v[2:3]
	v_fmac_f64_e32 v[4:5], v[16:17], v[0:1]
	v_mul_f64 v[0:1], v[18:19], v[0:1]
	v_fma_f64 v[0:1], v[16:17], v[2:3], -v[0:1]
	v_mad_u64_u32 v[16:17], s[6:7], s4, v23, v[20:21]
	v_mul_f64 v[4:5], v[4:5], s[0:1]
	v_mul_f64 v[6:7], v[0:1], s[0:1]
	v_add_u32_e32 v17, s3, v17
	global_store_dwordx4 v[16:17], v[4:7], off
	s_nop 1
	v_accvgpr_read_b32 v4, a28
	v_accvgpr_read_b32 v6, a30
	;; [unrolled: 1-line block ×4, first 2 shown]
	v_mul_f64 v[0:1], v[6:7], v[10:11]
	v_mul_f64 v[2:3], v[6:7], v[8:9]
	v_fmac_f64_e32 v[0:1], v[4:5], v[8:9]
	v_fma_f64 v[2:3], v[4:5], v[10:11], -v[2:3]
	v_mad_u64_u32 v[4:5], s[6:7], s4, v22, v[16:17]
	v_accvgpr_read_b32 v6, a36
	v_mul_f64 v[0:1], v[0:1], s[0:1]
	v_mul_f64 v[2:3], v[2:3], s[0:1]
	v_add_u32_e32 v5, s2, v5
	v_accvgpr_read_b32 v8, a38
	v_accvgpr_read_b32 v9, a39
	global_store_dwordx4 v[4:5], v[0:3], off
	v_accvgpr_read_b32 v7, a37
	s_waitcnt lgkmcnt(0)
	v_mul_f64 v[0:1], v[8:9], v[14:15]
	v_mul_f64 v[2:3], v[8:9], v[12:13]
	v_fmac_f64_e32 v[0:1], v[6:7], v[12:13]
	v_fma_f64 v[2:3], v[6:7], v[14:15], -v[2:3]
	v_mul_f64 v[0:1], v[0:1], s[0:1]
	v_mul_f64 v[2:3], v[2:3], s[0:1]
	v_mad_u64_u32 v[4:5], s[0:1], s4, v22, v[4:5]
	v_add_u32_e32 v5, s2, v5
	global_store_dwordx4 v[4:5], v[0:3], off
.LBB0_10:
	s_endpgm
	.section	.rodata,"a",@progbits
	.p2align	6, 0x0
	.amdhsa_kernel bluestein_single_back_len156_dim1_dp_op_CI_CI
		.amdhsa_group_segment_fixed_size 22464
		.amdhsa_private_segment_fixed_size 0
		.amdhsa_kernarg_size 104
		.amdhsa_user_sgpr_count 2
		.amdhsa_user_sgpr_dispatch_ptr 0
		.amdhsa_user_sgpr_queue_ptr 0
		.amdhsa_user_sgpr_kernarg_segment_ptr 1
		.amdhsa_user_sgpr_dispatch_id 0
		.amdhsa_user_sgpr_kernarg_preload_length 0
		.amdhsa_user_sgpr_kernarg_preload_offset 0
		.amdhsa_user_sgpr_private_segment_size 0
		.amdhsa_uses_dynamic_stack 0
		.amdhsa_enable_private_segment 0
		.amdhsa_system_sgpr_workgroup_id_x 1
		.amdhsa_system_sgpr_workgroup_id_y 0
		.amdhsa_system_sgpr_workgroup_id_z 0
		.amdhsa_system_sgpr_workgroup_info 0
		.amdhsa_system_vgpr_workitem_id 0
		.amdhsa_next_free_vgpr 360
		.amdhsa_next_free_sgpr 48
		.amdhsa_accum_offset 256
		.amdhsa_reserve_vcc 1
		.amdhsa_float_round_mode_32 0
		.amdhsa_float_round_mode_16_64 0
		.amdhsa_float_denorm_mode_32 3
		.amdhsa_float_denorm_mode_16_64 3
		.amdhsa_dx10_clamp 1
		.amdhsa_ieee_mode 1
		.amdhsa_fp16_overflow 0
		.amdhsa_tg_split 0
		.amdhsa_exception_fp_ieee_invalid_op 0
		.amdhsa_exception_fp_denorm_src 0
		.amdhsa_exception_fp_ieee_div_zero 0
		.amdhsa_exception_fp_ieee_overflow 0
		.amdhsa_exception_fp_ieee_underflow 0
		.amdhsa_exception_fp_ieee_inexact 0
		.amdhsa_exception_int_div_zero 0
	.end_amdhsa_kernel
	.text
.Lfunc_end0:
	.size	bluestein_single_back_len156_dim1_dp_op_CI_CI, .Lfunc_end0-bluestein_single_back_len156_dim1_dp_op_CI_CI
                                        ; -- End function
	.section	.AMDGPU.csdata,"",@progbits
; Kernel info:
; codeLenInByte = 15996
; NumSgprs: 54
; NumVgprs: 256
; NumAgprs: 104
; TotalNumVgprs: 360
; ScratchSize: 0
; MemoryBound: 0
; FloatMode: 240
; IeeeMode: 1
; LDSByteSize: 22464 bytes/workgroup (compile time only)
; SGPRBlocks: 6
; VGPRBlocks: 44
; NumSGPRsForWavesPerEU: 54
; NumVGPRsForWavesPerEU: 360
; AccumOffset: 256
; Occupancy: 1
; WaveLimiterHint : 1
; COMPUTE_PGM_RSRC2:SCRATCH_EN: 0
; COMPUTE_PGM_RSRC2:USER_SGPR: 2
; COMPUTE_PGM_RSRC2:TRAP_HANDLER: 0
; COMPUTE_PGM_RSRC2:TGID_X_EN: 1
; COMPUTE_PGM_RSRC2:TGID_Y_EN: 0
; COMPUTE_PGM_RSRC2:TGID_Z_EN: 0
; COMPUTE_PGM_RSRC2:TIDIG_COMP_CNT: 0
; COMPUTE_PGM_RSRC3_GFX90A:ACCUM_OFFSET: 63
; COMPUTE_PGM_RSRC3_GFX90A:TG_SPLIT: 0
	.text
	.p2alignl 6, 3212836864
	.fill 256, 4, 3212836864
	.type	__hip_cuid_48f355c6fcbd8192,@object ; @__hip_cuid_48f355c6fcbd8192
	.section	.bss,"aw",@nobits
	.globl	__hip_cuid_48f355c6fcbd8192
__hip_cuid_48f355c6fcbd8192:
	.byte	0                               ; 0x0
	.size	__hip_cuid_48f355c6fcbd8192, 1

	.ident	"AMD clang version 19.0.0git (https://github.com/RadeonOpenCompute/llvm-project roc-6.4.0 25133 c7fe45cf4b819c5991fe208aaa96edf142730f1d)"
	.section	".note.GNU-stack","",@progbits
	.addrsig
	.addrsig_sym __hip_cuid_48f355c6fcbd8192
	.amdgpu_metadata
---
amdhsa.kernels:
  - .agpr_count:     104
    .args:
      - .actual_access:  read_only
        .address_space:  global
        .offset:         0
        .size:           8
        .value_kind:     global_buffer
      - .actual_access:  read_only
        .address_space:  global
        .offset:         8
        .size:           8
        .value_kind:     global_buffer
      - .actual_access:  read_only
        .address_space:  global
        .offset:         16
        .size:           8
        .value_kind:     global_buffer
      - .actual_access:  read_only
        .address_space:  global
        .offset:         24
        .size:           8
        .value_kind:     global_buffer
      - .actual_access:  read_only
        .address_space:  global
        .offset:         32
        .size:           8
        .value_kind:     global_buffer
      - .offset:         40
        .size:           8
        .value_kind:     by_value
      - .address_space:  global
        .offset:         48
        .size:           8
        .value_kind:     global_buffer
      - .address_space:  global
        .offset:         56
        .size:           8
        .value_kind:     global_buffer
      - .address_space:  global
        .offset:         64
        .size:           8
        .value_kind:     global_buffer
      - .address_space:  global
        .offset:         72
        .size:           8
        .value_kind:     global_buffer
      - .offset:         80
        .size:           4
        .value_kind:     by_value
      - .address_space:  global
        .offset:         88
        .size:           8
        .value_kind:     global_buffer
      - .address_space:  global
        .offset:         96
        .size:           8
        .value_kind:     global_buffer
    .group_segment_fixed_size: 22464
    .kernarg_segment_align: 8
    .kernarg_segment_size: 104
    .language:       OpenCL C
    .language_version:
      - 2
      - 0
    .max_flat_workgroup_size: 117
    .name:           bluestein_single_back_len156_dim1_dp_op_CI_CI
    .private_segment_fixed_size: 0
    .sgpr_count:     54
    .sgpr_spill_count: 0
    .symbol:         bluestein_single_back_len156_dim1_dp_op_CI_CI.kd
    .uniform_work_group_size: 1
    .uses_dynamic_stack: false
    .vgpr_count:     360
    .vgpr_spill_count: 0
    .wavefront_size: 64
amdhsa.target:   amdgcn-amd-amdhsa--gfx950
amdhsa.version:
  - 1
  - 2
...

	.end_amdgpu_metadata
